;; amdgpu-corpus repo=ROCm/rocFFT kind=compiled arch=gfx1100 opt=O3
	.text
	.amdgcn_target "amdgcn-amd-amdhsa--gfx1100"
	.amdhsa_code_object_version 6
	.protected	bluestein_single_fwd_len3600_dim1_sp_op_CI_CI ; -- Begin function bluestein_single_fwd_len3600_dim1_sp_op_CI_CI
	.globl	bluestein_single_fwd_len3600_dim1_sp_op_CI_CI
	.p2align	8
	.type	bluestein_single_fwd_len3600_dim1_sp_op_CI_CI,@function
bluestein_single_fwd_len3600_dim1_sp_op_CI_CI: ; @bluestein_single_fwd_len3600_dim1_sp_op_CI_CI
; %bb.0:
	s_load_b128 s[16:19], s[0:1], 0x28
	v_mul_u32_u24_e32 v1, 0x223, v0
	s_mov_b32 s2, exec_lo
	v_mov_b32_e32 v3, 0
	s_delay_alu instid0(VALU_DEP_2) | instskip(NEXT) | instid1(VALU_DEP_1)
	v_lshrrev_b32_e32 v1, 16, v1
	v_add_nc_u32_e32 v2, s15, v1
	s_waitcnt lgkmcnt(0)
	s_delay_alu instid0(VALU_DEP_1)
	v_cmpx_gt_u64_e64 s[16:17], v[2:3]
	s_cbranch_execz .LBB0_2
; %bb.1:
	s_clause 0x1
	s_load_b128 s[4:7], s[0:1], 0x18
	s_load_b128 s[8:11], s[0:1], 0x0
	v_mul_lo_u16 v1, 0x78, v1
	v_mov_b32_e32 v6, v2
	s_load_b64 s[0:1], s[0:1], 0x38
	s_delay_alu instid0(VALU_DEP_2)
	v_sub_nc_u16 v92, v0, v1
	scratch_store_b64 off, v[6:7], off      ; 8-byte Folded Spill
	v_and_b32_e32 v138, 0xffff, v92
	s_waitcnt lgkmcnt(0)
	s_load_b128 s[12:15], s[4:5], 0x0
	s_add_u32 s2, s8, 0x7080
	s_addc_u32 s3, s9, 0
	s_waitcnt lgkmcnt(0)
	v_mad_u64_u32 v[0:1], null, s14, v2, 0
	v_mad_u64_u32 v[2:3], null, s12, v138, 0
	s_mul_i32 s4, s13, 0xb40
	s_mul_i32 s5, s12, 0xb40
	s_delay_alu instid0(VALU_DEP_1) | instskip(SKIP_1) | instid1(SALU_CYCLE_1)
	v_mad_u64_u32 v[4:5], null, s15, v6, v[1:2]
	s_mul_hi_u32 s15, s12, 0xb40
	s_add_i32 s4, s15, s4
	s_delay_alu instid0(VALU_DEP_1) | instskip(NEXT) | instid1(VALU_DEP_3)
	v_mov_b32_e32 v1, v4
	v_mad_u64_u32 v[5:6], null, s13, v138, v[3:4]
	v_lshlrev_b32_e32 v19, 3, v138
	s_clause 0x1
	global_load_b64 v[24:25], v19, s[8:9] offset:2880
	global_load_b64 v[32:33], v19, s[8:9]
	v_mov_b32_e32 v3, v5
	v_lshlrev_b64 v[0:1], 3, v[0:1]
	s_delay_alu instid0(VALU_DEP_2) | instskip(NEXT) | instid1(VALU_DEP_2)
	v_lshlrev_b64 v[2:3], 3, v[2:3]
	v_add_co_u32 v4, vcc_lo, s18, v0
	s_delay_alu instid0(VALU_DEP_3) | instskip(NEXT) | instid1(VALU_DEP_2)
	v_add_co_ci_u32_e32 v5, vcc_lo, s19, v1, vcc_lo
	v_add_co_u32 v0, vcc_lo, v4, v2
	s_delay_alu instid0(VALU_DEP_2)
	v_add_co_ci_u32_e32 v1, vcc_lo, v5, v3, vcc_lo
	global_load_b64 v[6:7], v[0:1], off
	v_add_co_u32 v0, vcc_lo, v0, s5
	v_add_co_ci_u32_e32 v1, vcc_lo, s4, v1, vcc_lo
	global_load_b64 v[8:9], v[0:1], off
	s_waitcnt vmcnt(1)
	v_mul_f32_e32 v18, v6, v33
	v_add_co_u32 v26, s14, s8, v19
	s_delay_alu instid0(VALU_DEP_1) | instskip(SKIP_1) | instid1(VALU_DEP_3)
	v_add_co_ci_u32_e64 v27, null, s9, 0, s14
	v_mul_f32_e32 v20, v7, v33
	v_add_co_u32 v2, vcc_lo, 0x1000, v26
	s_delay_alu instid0(VALU_DEP_3)
	v_add_co_ci_u32_e32 v3, vcc_lo, 0, v27, vcc_lo
	v_add_co_u32 v10, vcc_lo, v0, s5
	v_add_co_ci_u32_e32 v11, vcc_lo, s4, v1, vcc_lo
	global_load_b64 v[30:31], v[2:3], off offset:1664
	global_load_b64 v[12:13], v[10:11], off
	v_add_co_u32 v0, vcc_lo, 0x2000, v26
	v_add_co_ci_u32_e32 v1, vcc_lo, 0, v27, vcc_lo
	v_add_co_u32 v10, vcc_lo, v10, s5
	v_add_co_ci_u32_e32 v11, vcc_lo, s4, v11, vcc_lo
	global_load_b64 v[22:23], v[0:1], off offset:448
	global_load_b64 v[14:15], v[10:11], off
	v_add_co_u32 v10, vcc_lo, v10, s5
	v_add_co_ci_u32_e32 v11, vcc_lo, s4, v11, vcc_lo
	global_load_b64 v[28:29], v[0:1], off offset:3328
	global_load_b64 v[16:17], v[10:11], off
	v_fmac_f32_e32 v20, v6, v32
	s_waitcnt vmcnt(6)
	v_mul_f32_e32 v6, v8, v25
	v_fma_f32 v21, v7, v32, -v18
	s_mul_i32 s14, s13, 0xffff9e80
	v_add_co_u32 v10, vcc_lo, v10, s5
	s_delay_alu instid0(VALU_DEP_3)
	v_fma_f32 v7, v9, v24, -v6
	v_mul_f32_e32 v6, v9, v25
	s_sub_i32 s14, s14, s12
	v_add_co_ci_u32_e32 v11, vcc_lo, s4, v11, vcc_lo
	scratch_store_b64 off, v[32:33], off offset:236 ; 8-byte Folded Spill
	v_fmac_f32_e32 v6, v8, v24
	v_add_nc_u32_e32 v132, 0x1800, v19
	v_add_nc_u32_e32 v134, 0x4400, v19
	;; [unrolled: 1-line block ×6, first 2 shown]
	s_delay_alu instid0(VALU_DEP_4)
	v_dual_mov_b32 v188, v42 :: v_dual_add_nc_u32 v135, 0x5c00, v19
	v_add_nc_u32_e32 v255, 0x400, v19
	s_waitcnt vmcnt(5)
	scratch_store_b64 off, v[30:31], off offset:188 ; 8-byte Folded Spill
	s_waitcnt vmcnt(4)
	v_mul_f32_e32 v8, v12, v31
	s_delay_alu instid0(VALU_DEP_1) | instskip(SKIP_1) | instid1(VALU_DEP_1)
	v_fma_f32 v9, v13, v30, -v8
	v_mul_f32_e32 v8, v13, v31
	v_fmac_f32_e32 v8, v12, v30
	s_waitcnt vmcnt(2)
	v_mul_f32_e32 v12, v14, v23
	ds_store_b64 v19, v[6:7] offset:2880
	v_mul_f32_e32 v6, v15, v23
	v_fma_f32 v7, v15, v22, -v12
	v_add_co_u32 v12, vcc_lo, 0x3000, v26
	s_delay_alu instid0(VALU_DEP_3)
	v_fmac_f32_e32 v6, v14, v22
	s_waitcnt vmcnt(0)
	v_mul_f32_e32 v14, v16, v29
	v_add_co_ci_u32_e32 v13, vcc_lo, 0, v27, vcc_lo
	ds_store_b64 v19, v[8:9] offset:5760
	v_mul_f32_e32 v8, v17, v29
	v_fma_f32 v9, v17, v28, -v14
	v_add_co_u32 v14, vcc_lo, v10, s5
	global_load_b64 v[17:18], v[12:13], off offset:2112
	v_add_co_ci_u32_e32 v15, vcc_lo, s4, v11, vcc_lo
	global_load_b64 v[10:11], v[10:11], off
	v_fmac_f32_e32 v8, v16, v28
	ds_store_b64 v19, v[6:7] offset:8640
	s_clause 0x2
	scratch_store_b64 off, v[24:25], off offset:44
	scratch_store_b64 off, v[28:29], off offset:180
	;; [unrolled: 1-line block ×3, first 2 shown]
	ds_store_b64 v19, v[8:9] offset:11520
	v_add_co_u32 v8, vcc_lo, 0x4000, v26
	v_add_co_ci_u32_e32 v9, vcc_lo, 0, v27, vcc_lo
	s_waitcnt vmcnt(1)
	scratch_store_b64 off, v[17:18], off offset:28 ; 8-byte Folded Spill
	s_waitcnt vmcnt(0)
	v_mul_f32_e32 v6, v11, v18
	v_mul_f32_e32 v7, v10, v18
	s_delay_alu instid0(VALU_DEP_2) | instskip(SKIP_1) | instid1(VALU_DEP_3)
	v_fmac_f32_e32 v6, v10, v17
	v_add_co_u32 v10, vcc_lo, v14, s5
	v_fma_f32 v7, v11, v17, -v7
	v_add_co_ci_u32_e32 v11, vcc_lo, s4, v15, vcc_lo
	global_load_b64 v[14:15], v[14:15], off
	global_load_b64 v[17:18], v[8:9], off offset:896
	ds_store_b64 v19, v[6:7] offset:14400
	v_add_co_u32 v6, vcc_lo, v10, s5
	v_add_co_ci_u32_e32 v7, vcc_lo, s4, v11, vcc_lo
	s_waitcnt vmcnt(0)
	scratch_store_b64 off, v[17:18], off offset:172 ; 8-byte Folded Spill
	global_load_b64 v[10:11], v[10:11], off
	global_load_b64 v[22:23], v[8:9], off offset:3776
	v_mul_f32_e32 v16, v14, v18
	s_delay_alu instid0(VALU_DEP_1) | instskip(SKIP_1) | instid1(VALU_DEP_1)
	v_fma_f32 v16, v15, v17, -v16
	v_mul_f32_e32 v15, v15, v18
	v_fmac_f32_e32 v15, v14, v17
	s_waitcnt vmcnt(0)
	v_mul_f32_e32 v17, v11, v23
	v_mul_f32_e32 v14, v10, v23
	scratch_store_b64 off, v[22:23], off offset:20 ; 8-byte Folded Spill
	v_fmac_f32_e32 v17, v10, v22
	v_add_co_u32 v10, vcc_lo, 0x5000, v26
	v_fma_f32 v18, v11, v22, -v14
	v_add_co_ci_u32_e32 v11, vcc_lo, 0, v27, vcc_lo
	v_add_co_u32 v22, vcc_lo, v6, s5
	v_add_co_ci_u32_e32 v23, vcc_lo, s4, v7, vcc_lo
	global_load_b64 v[6:7], v[6:7], off
	s_clause 0x1
	global_load_b64 v[28:29], v[10:11], off offset:2560
	global_load_b64 v[33:34], v19, s[8:9] offset:960
	s_waitcnt vmcnt(1)
	v_mul_f32_e32 v24, v7, v29
	v_mul_f32_e32 v14, v6, v29
	scratch_store_b64 off, v[28:29], off offset:164 ; 8-byte Folded Spill
	s_waitcnt vmcnt(0)
	scratch_store_b64 off, v[33:34], off offset:204 ; 8-byte Folded Spill
	v_fmac_f32_e32 v24, v6, v28
	v_add_co_u32 v6, vcc_lo, 0x6000, v26
	v_fma_f32 v25, v7, v28, -v14
	v_add_co_ci_u32_e32 v7, vcc_lo, 0, v27, vcc_lo
	global_load_b64 v[26:27], v[22:23], off
	global_load_b64 v[29:30], v[6:7], off offset:1344
	s_waitcnt vmcnt(0)
	v_mul_f32_e32 v14, v26, v30
	scratch_store_b64 off, v[29:30], off offset:12 ; 8-byte Folded Spill
	v_fma_f32 v28, v27, v29, -v14
	v_mul_f32_e32 v27, v27, v30
	s_delay_alu instid0(VALU_DEP_1) | instskip(SKIP_1) | instid1(VALU_DEP_1)
	v_fmac_f32_e32 v27, v26, v29
	v_mad_u64_u32 v[29:30], null, 0xffff9e80, s12, v[22:23]
	v_add_nc_u32_e32 v30, s14, v30
	global_load_b64 v[22:23], v[29:30], off
	s_waitcnt vmcnt(0)
	v_mul_f32_e32 v14, v22, v34
	v_mul_f32_e32 v31, v23, v34
	s_delay_alu instid0(VALU_DEP_2) | instskip(SKIP_1) | instid1(VALU_DEP_3)
	v_fma_f32 v32, v23, v33, -v14
	v_add_co_u32 v14, vcc_lo, v29, s5
	v_fmac_f32_e32 v31, v22, v33
	ds_store_b64 v19, v[15:16] offset:17280
	ds_store_b64 v19, v[17:18] offset:20160
	;; [unrolled: 1-line block ×4, first 2 shown]
	ds_store_2addr_b64 v19, v[20:21], v[31:32] offset1:120
	v_add_co_ci_u32_e32 v15, vcc_lo, s4, v30, vcc_lo
	v_add_co_u32 v16, vcc_lo, v14, s5
	s_delay_alu instid0(VALU_DEP_2) | instskip(SKIP_4) | instid1(VALU_DEP_2)
	v_add_co_ci_u32_e32 v17, vcc_lo, s4, v15, vcc_lo
	global_load_b64 v[14:15], v[14:15], off
	global_load_b64 v[28:29], v19, s[8:9] offset:3840
	v_add_co_u32 v20, vcc_lo, v16, s5
	v_add_co_ci_u32_e32 v21, vcc_lo, s4, v17, vcc_lo
	v_add_co_u32 v22, vcc_lo, v20, s5
	s_delay_alu instid0(VALU_DEP_2) | instskip(NEXT) | instid1(VALU_DEP_1)
	v_add_co_ci_u32_e32 v23, vcc_lo, s4, v21, vcc_lo
	v_mad_u64_u32 v[24:25], null, 0x1680, s12, v[22:23]
	s_delay_alu instid0(VALU_DEP_1) | instskip(NEXT) | instid1(VALU_DEP_1)
	v_mov_b32_e32 v18, v25
	v_mad_u64_u32 v[25:26], null, 0x1680, s13, v[18:19]
	s_waitcnt vmcnt(0)
	v_mul_f32_e32 v26, v15, v29
	v_mul_f32_e32 v18, v14, v29
	scratch_store_b64 off, v[28:29], off offset:60 ; 8-byte Folded Spill
	v_fmac_f32_e32 v26, v14, v28
	v_add_co_u32 v14, vcc_lo, v24, s5
	v_fma_f32 v27, v15, v28, -v18
	v_add_co_ci_u32_e32 v15, vcc_lo, s4, v25, vcc_lo
	s_delay_alu instid0(VALU_DEP_3) | instskip(NEXT) | instid1(VALU_DEP_2)
	v_add_co_u32 v28, vcc_lo, v14, s5
	v_add_co_ci_u32_e32 v29, vcc_lo, s4, v15, vcc_lo
	s_delay_alu instid0(VALU_DEP_2) | instskip(NEXT) | instid1(VALU_DEP_2)
	v_add_co_u32 v30, vcc_lo, v28, s5
	v_add_co_ci_u32_e32 v31, vcc_lo, s4, v29, vcc_lo
	s_delay_alu instid0(VALU_DEP_1) | instskip(NEXT) | instid1(VALU_DEP_1)
	v_mad_u64_u32 v[32:33], null, 0xffff9e80, s12, v[30:31]
	v_add_nc_u32_e32 v33, s14, v33
	s_delay_alu instid0(VALU_DEP_2) | instskip(NEXT) | instid1(VALU_DEP_2)
	v_add_co_u32 v34, vcc_lo, v32, s5
	v_add_co_ci_u32_e32 v35, vcc_lo, s4, v33, vcc_lo
	global_load_b64 v[39:40], v[2:3], off offset:704
	global_load_b64 v[36:37], v[34:35], off
	s_waitcnt vmcnt(1)
	scratch_store_b64 off, v[39:40], off offset:140 ; 8-byte Folded Spill
	s_waitcnt vmcnt(0)
	v_mul_f32_e32 v18, v36, v40
	s_delay_alu instid0(VALU_DEP_1) | instskip(SKIP_1) | instid1(VALU_DEP_1)
	v_fma_f32 v38, v37, v39, -v18
	v_mul_f32_e32 v37, v37, v40
	v_fmac_f32_e32 v37, v36, v39
	ds_store_2addr_b64 v247, v[26:27], v[37:38] offset0:96 offset1:216
	v_add_co_u32 v26, vcc_lo, v34, s5
	v_add_co_ci_u32_e32 v27, vcc_lo, s4, v35, vcc_lo
	global_load_b64 v[16:17], v[16:17], off
	s_clause 0x1
	global_load_b64 v[34:35], v[2:3], off offset:2624
	global_load_b64 v[36:37], v[2:3], off offset:3584
	global_load_b64 v[2:3], v[26:27], off
	s_waitcnt vmcnt(2)
	v_mul_f32_e32 v18, v16, v35
	scratch_store_b64 off, v[34:35], off offset:228 ; 8-byte Folded Spill
	s_waitcnt vmcnt(1)
	scratch_store_b64 off, v[36:37], off offset:156 ; 8-byte Folded Spill
	v_fma_f32 v18, v17, v34, -v18
	v_mul_f32_e32 v17, v17, v35
	s_waitcnt vmcnt(0)
	s_delay_alu instid0(VALU_DEP_1) | instskip(SKIP_1) | instid1(VALU_DEP_2)
	v_dual_fmac_f32 v17, v16, v34 :: v_dual_mul_f32 v16, v2, v37
	v_mul_f32_e32 v34, v3, v37
	v_fma_f32 v35, v3, v36, -v16
	s_delay_alu instid0(VALU_DEP_2)
	v_fmac_f32_e32 v34, v2, v36
	v_add_co_u32 v2, vcc_lo, v26, s5
	v_add_co_ci_u32_e32 v3, vcc_lo, s4, v27, vcc_lo
	ds_store_2addr_b64 v132, v[17:18], v[34:35] offset0:72 offset1:192
	global_load_b64 v[16:17], v[20:21], off
	s_clause 0x1
	global_load_b64 v[20:21], v[0:1], off offset:1408
	global_load_b64 v[26:27], v[0:1], off offset:2368
	global_load_b64 v[0:1], v[2:3], off
	s_waitcnt vmcnt(2)
	v_mul_f32_e32 v18, v16, v21
	scratch_store_b64 off, v[20:21], off offset:84 ; 8-byte Folded Spill
	s_waitcnt vmcnt(1)
	scratch_store_b64 off, v[26:27], off offset:100 ; 8-byte Folded Spill
	v_fma_f32 v18, v17, v20, -v18
	v_mul_f32_e32 v17, v17, v21
	s_delay_alu instid0(VALU_DEP_1) | instskip(SKIP_3) | instid1(VALU_DEP_2)
	v_fmac_f32_e32 v17, v16, v20
	s_waitcnt vmcnt(0)
	v_mul_f32_e32 v16, v0, v27
	v_mul_f32_e32 v20, v1, v27
	v_fma_f32 v21, v1, v26, -v16
	s_delay_alu instid0(VALU_DEP_2)
	v_fmac_f32_e32 v20, v0, v26
	v_add_nc_u32_e32 v0, 0x2400, v19
	ds_store_2addr_b64 v0, v[17:18], v[20:21] offset0:48 offset1:168
	v_mov_b32_e32 v180, v0
	v_add_co_u32 v0, vcc_lo, v2, s5
	v_add_co_ci_u32_e32 v1, vcc_lo, s4, v3, vcc_lo
	global_load_b64 v[2:3], v[22:23], off
	s_clause 0x1
	global_load_b64 v[20:21], v[12:13], off offset:192
	global_load_b64 v[22:23], v[12:13], off offset:1152
	s_waitcnt vmcnt(1)
	v_mul_f32_e32 v16, v2, v21
	scratch_store_b64 off, v[20:21], off offset:308 ; 8-byte Folded Spill
	v_fma_f32 v17, v3, v20, -v16
	v_mul_f32_e32 v16, v3, v21
	s_delay_alu instid0(VALU_DEP_1) | instskip(SKIP_4) | instid1(VALU_DEP_2)
	v_fmac_f32_e32 v16, v2, v20
	global_load_b64 v[2:3], v[0:1], off
	s_waitcnt vmcnt(0)
	v_mul_f32_e32 v18, v2, v23
	v_mul_f32_e32 v20, v3, v23
	v_fma_f32 v21, v3, v22, -v18
	v_or_b32_e32 v18, 0x780, v138
	s_delay_alu instid0(VALU_DEP_3) | instskip(NEXT) | instid1(VALU_DEP_2)
	v_fmac_f32_e32 v20, v2, v22
	v_mad_u64_u32 v[2:3], null, s12, v18, 0
	ds_store_2addr_b64 v133, v[16:17], v[20:21] offset0:24 offset1:144
	v_lshlrev_b32_e32 v136, 3, v18
	global_load_b64 v[20:21], v[12:13], off offset:4032
	s_clause 0x1
	scratch_store_b64 off, v[22:23], off offset:124
	scratch_store_b32 off, v18, off offset:8
	v_mad_u64_u32 v[16:17], null, s13, v18, v[3:4]
	s_delay_alu instid0(VALU_DEP_1) | instskip(SKIP_2) | instid1(VALU_DEP_1)
	v_mov_b32_e32 v3, v16
	global_load_b64 v[16:17], v136, s[8:9]
	v_lshlrev_b64 v[2:3], 3, v[2:3]
	v_add_co_u32 v2, vcc_lo, v4, v2
	s_delay_alu instid0(VALU_DEP_2)
	v_add_co_ci_u32_e32 v3, vcc_lo, v5, v3, vcc_lo
	v_add_co_u32 v0, vcc_lo, v0, s5
	v_add_co_ci_u32_e32 v1, vcc_lo, s4, v1, vcc_lo
	global_load_b64 v[2:3], v[2:3], off
	global_load_b64 v[12:13], v[0:1], off
	v_add_co_u32 v0, vcc_lo, v0, s5
	v_add_co_ci_u32_e32 v1, vcc_lo, s4, v1, vcc_lo
	s_waitcnt vmcnt(3)
	scratch_store_b64 off, v[20:21], off offset:132 ; 8-byte Folded Spill
	s_waitcnt vmcnt(2)
	scratch_store_b64 off, v[16:17], off offset:148 ; 8-byte Folded Spill
	s_waitcnt vmcnt(1)
	v_mul_f32_e32 v4, v2, v17
	s_delay_alu instid0(VALU_DEP_1) | instskip(SKIP_2) | instid1(VALU_DEP_1)
	v_fma_f32 v4, v3, v16, -v4
	v_mul_f32_e32 v3, v3, v17
	s_waitcnt vmcnt(0)
	v_dual_fmac_f32 v3, v2, v16 :: v_dual_mul_f32 v2, v12, v21
	v_mul_f32_e32 v16, v13, v21
	s_delay_alu instid0(VALU_DEP_2) | instskip(NEXT) | instid1(VALU_DEP_2)
	v_fma_f32 v17, v13, v20, -v2
	v_fmac_f32_e32 v16, v12, v20
	v_add_nc_u32_e32 v2, 0x3800, v19
	ds_store_2addr_b64 v2, v[3:4], v[16:17] offset0:128 offset1:248
	v_mov_b32_e32 v184, v2
	global_load_b64 v[2:3], v[24:25], off
	s_clause 0x1
	global_load_b64 v[12:13], v[8:9], off offset:1856
	global_load_b64 v[16:17], v[8:9], off offset:2816
	global_load_b64 v[8:9], v[0:1], off
	v_add_co_u32 v0, vcc_lo, v0, s5
	v_add_co_ci_u32_e32 v1, vcc_lo, s4, v1, vcc_lo
	s_waitcnt vmcnt(2)
	v_mul_f32_e32 v4, v2, v13
	scratch_store_b64 off, v[12:13], off offset:220 ; 8-byte Folded Spill
	s_waitcnt vmcnt(1)
	scratch_store_b64 off, v[16:17], off offset:92 ; 8-byte Folded Spill
	v_fma_f32 v4, v3, v12, -v4
	v_mul_f32_e32 v3, v3, v13
	s_waitcnt vmcnt(0)
	s_delay_alu instid0(VALU_DEP_1) | instskip(SKIP_1) | instid1(VALU_DEP_2)
	v_dual_fmac_f32 v3, v2, v12 :: v_dual_mul_f32 v2, v8, v17
	v_dual_mul_f32 v12, v9, v17 :: v_dual_add_nc_u32 v17, 0x5800, v19
	v_fma_f32 v13, v9, v16, -v2
	s_delay_alu instid0(VALU_DEP_2)
	v_dual_fmac_f32 v12, v8, v16 :: v_dual_mov_b32 v189, v17
	ds_store_2addr_b64 v134, v[3:4], v[12:13] offset0:104 offset1:224
	global_load_b64 v[2:3], v[14:15], off
	s_clause 0x1
	global_load_b64 v[8:9], v[10:11], off offset:640
	global_load_b64 v[14:15], v[10:11], off offset:1600
	s_waitcnt vmcnt(1)
	v_mul_f32_e32 v4, v2, v9
	scratch_store_b64 off, v[8:9], off offset:108 ; 8-byte Folded Spill
	v_fma_f32 v4, v3, v8, -v4
	v_mul_f32_e32 v3, v3, v9
	s_delay_alu instid0(VALU_DEP_1)
	v_fmac_f32_e32 v3, v2, v8
	global_load_b64 v[8:9], v[0:1], off
	v_add_co_u32 v0, vcc_lo, v0, s5
	v_add_co_ci_u32_e32 v1, vcc_lo, s4, v1, vcc_lo
	s_waitcnt vmcnt(0)
	v_mul_f32_e32 v2, v8, v15
	v_mul_f32_e32 v12, v9, v15
	s_delay_alu instid0(VALU_DEP_2) | instskip(NEXT) | instid1(VALU_DEP_2)
	v_fma_f32 v13, v9, v14, -v2
	v_fmac_f32_e32 v12, v8, v14
	v_add_nc_u32_e32 v2, 0x5000, v19
	global_load_b64 v[8:9], v[10:11], off offset:3520
	ds_store_2addr_b64 v2, v[3:4], v[12:13] offset0:80 offset1:200
	v_mov_b32_e32 v182, v2
	global_load_b64 v[2:3], v[28:29], off
	global_load_b64 v[11:12], v[6:7], off offset:384
	scratch_store_b64 off, v[14:15], off offset:116 ; 8-byte Folded Spill
	v_add_nc_u32_e32 v13, 0x2c00, v19
	s_delay_alu instid0(VALU_DEP_1)
	v_mov_b32_e32 v186, v13
	s_waitcnt vmcnt(2)
	scratch_store_b64 off, v[8:9], off offset:212 ; 8-byte Folded Spill
	s_waitcnt vmcnt(1)
	v_mul_f32_e32 v4, v2, v9
	s_waitcnt vmcnt(0)
	scratch_store_b64 off, v[11:12], off offset:52 ; 8-byte Folded Spill
	v_fma_f32 v4, v3, v8, -v4
	v_mul_f32_e32 v3, v3, v9
	s_delay_alu instid0(VALU_DEP_1)
	v_fmac_f32_e32 v3, v2, v8
	global_load_b64 v[8:9], v[0:1], off
	v_add_co_u32 v0, vcc_lo, v0, s5
	v_add_co_ci_u32_e32 v1, vcc_lo, s4, v1, vcc_lo
	v_cmp_gt_u16_e32 vcc_lo, 0x64, v92
	s_waitcnt vmcnt(0)
	v_mul_f32_e32 v2, v8, v12
	s_delay_alu instid0(VALU_DEP_1) | instskip(SKIP_1) | instid1(VALU_DEP_1)
	v_fma_f32 v10, v9, v11, -v2
	v_mul_f32_e32 v9, v9, v12
	v_fmac_f32_e32 v9, v8, v11
	ds_store_2addr_b64 v135, v[3:4], v[9:10] offset0:56 offset1:176
	global_load_b64 v[2:3], v[30:31], off
	s_clause 0x1
	global_load_b64 v[8:9], v[6:7], off offset:2304
	global_load_b64 v[5:6], v[6:7], off offset:3264
	global_load_b64 v[0:1], v[0:1], off
	s_waitcnt vmcnt(2)
	v_mul_f32_e32 v4, v2, v9
	scratch_store_b64 off, v[8:9], off offset:68 ; 8-byte Folded Spill
	s_waitcnt vmcnt(1)
	scratch_store_b64 off, v[5:6], off offset:76 ; 8-byte Folded Spill
	v_fma_f32 v4, v3, v8, -v4
	v_mul_f32_e32 v3, v3, v9
	s_waitcnt vmcnt(0)
	s_delay_alu instid0(VALU_DEP_1) | instskip(SKIP_1) | instid1(VALU_DEP_2)
	v_dual_fmac_f32 v3, v2, v8 :: v_dual_mul_f32 v2, v0, v6
	v_add_nc_u32_e32 v8, 0x1400, v19
	v_fma_f32 v2, v1, v5, -v2
	s_delay_alu instid0(VALU_DEP_2) | instskip(NEXT) | instid1(VALU_DEP_1)
	v_dual_mul_f32 v1, v1, v6 :: v_dual_mov_b32 v192, v8
	v_dual_fmac_f32 v1, v0, v5 :: v_dual_add_nc_u32 v0, 0x6800, v19
	ds_store_2addr_b64 v0, v[3:4], v[1:2] offset0:32 offset1:152
	v_mov_b32_e32 v181, v0
	global_load_b64 v[0:1], v[32:33], off
	global_load_b64 v[3:4], v19, s[8:9] offset:1920
	s_load_b128 s[4:7], s[6:7], 0x0
	s_waitcnt vmcnt(0)
	v_mul_f32_e32 v2, v0, v4
	scratch_store_b64 off, v[3:4], off offset:196 ; 8-byte Folded Spill
	v_fma_f32 v2, v1, v3, -v2
	v_mul_f32_e32 v1, v1, v4
	s_delay_alu instid0(VALU_DEP_1)
	v_fmac_f32_e32 v1, v0, v3
	ds_store_b64 v19, v[1:2] offset:1920
	s_waitcnt lgkmcnt(0)
	s_waitcnt_vscnt null, 0x0
	s_barrier
	buffer_gl0_inv
	ds_load_2addr_b64 v[0:3], v19 offset1:120
	ds_load_2addr_b64 v[4:7], v8 offset0:80 offset1:200
	ds_load_2addr_b64 v[8:11], v13 offset0:32 offset1:152
	s_waitcnt lgkmcnt(1)
	v_add_f32_e32 v12, v0, v4
	s_waitcnt lgkmcnt(0)
	v_sub_f32_e32 v66, v4, v8
	v_sub_f32_e32 v36, v8, v4
	;; [unrolled: 1-line block ×4, first 2 shown]
	v_dual_add_f32 v13, v12, v8 :: v_dual_add_f32 v12, v1, v5
	v_dual_sub_f32 v24, v6, v10 :: v_dual_sub_f32 v25, v7, v11
	v_sub_f32_e32 v20, v11, v7
	s_delay_alu instid0(VALU_DEP_3) | instskip(SKIP_1) | instid1(VALU_DEP_1)
	v_add_f32_e32 v26, v12, v9
	v_add_f32_e32 v12, v2, v6
	v_dual_add_f32 v27, v12, v10 :: v_dual_add_f32 v12, v3, v7
	s_delay_alu instid0(VALU_DEP_1)
	v_add_f32_e32 v30, v12, v11
	v_add_nc_u32_e32 v12, 0x4000, v19
	ds_load_2addr_b64 v[43:46], v12 offset0:112 offset1:232
	v_mov_b32_e32 v190, v12
	v_sub_f32_e32 v12, v10, v6
	s_waitcnt lgkmcnt(0)
	v_add_f32_e32 v56, v8, v43
	v_sub_f32_e32 v28, v9, v44
	v_add_f32_e32 v63, v9, v44
	v_dual_sub_f32 v29, v8, v43 :: v_dual_add_f32 v14, v10, v45
	v_sub_f32_e32 v15, v11, v46
	v_dual_add_f32 v23, v11, v46 :: v_dual_sub_f32 v16, v10, v45
	ds_load_2addr_b64 v[8:11], v17 offset0:64 offset1:184
	v_fma_f32 v63, -0.5, v63, v1
	v_fma_f32 v23, -0.5, v23, v3
	s_waitcnt lgkmcnt(0)
	v_dual_sub_f32 v32, v5, v9 :: v_dual_add_f32 v39, v4, v8
	v_dual_sub_f32 v33, v4, v8 :: v_dual_add_f32 v38, v5, v9
	v_sub_f32_e32 v17, v7, v11
	v_add_f32_e32 v21, v6, v10
	v_sub_f32_e32 v18, v6, v10
	v_add_f32_e32 v22, v7, v11
	v_dual_add_f32 v4, v13, v43 :: v_dual_add_f32 v5, v26, v44
	v_dual_add_f32 v6, v27, v45 :: v_dual_add_f32 v7, v30, v46
	v_sub_f32_e32 v73, v8, v43
	v_sub_f32_e32 v43, v43, v8
	;; [unrolled: 1-line block ×7, first 2 shown]
	v_dual_sub_f32 v31, v46, v11 :: v_dual_add_f32 v40, v4, v8
	v_dual_add_f32 v41, v5, v9 :: v_dual_add_f32 v26, v6, v10
	v_add_f32_e32 v27, v7, v11
	v_add_nc_u32_e32 v45, 0x3400, v19
	ds_load_2addr_b64 v[4:7], v255 offset0:112 offset1:232
	ds_load_2addr_b64 v[8:11], v42 offset0:64 offset1:184
	ds_load_2addr_b64 v[75:78], v248 offset0:48 offset1:168
	ds_load_2addr_b64 v[59:62], v45 offset0:16 offset1:136
	s_waitcnt lgkmcnt(2)
	v_dual_mov_b32 v187, v45 :: v_dual_add_f32 v54, v6, v10
	s_waitcnt lgkmcnt(1)
	v_sub_f32_e32 v42, v11, v78
	v_dual_add_f32 v48, v10, v77 :: v_dual_add_f32 v55, v7, v11
	s_waitcnt lgkmcnt(0)
	v_sub_f32_e32 v85, v10, v61
	v_sub_f32_e32 v13, v61, v10
	;; [unrolled: 1-line block ×4, first 2 shown]
	v_add_f32_e32 v47, v11, v78
	v_dual_sub_f32 v49, v62, v11 :: v_dual_add_f32 v10, v4, v8
	v_add_f32_e32 v11, v5, v9
	v_dual_add_f32 v69, v54, v61 :: v_dual_add_nc_u32 v54, 0x4800, v19
	v_dual_sub_f32 v46, v9, v76 :: v_dual_sub_f32 v53, v8, v59
	v_add_f32_e32 v50, v8, v75
	v_dual_sub_f32 v52, v59, v8 :: v_dual_sub_f32 v51, v8, v75
	v_add_f32_e32 v57, v9, v76
	v_sub_f32_e32 v64, v9, v60
	v_dual_sub_f32 v58, v60, v9 :: v_dual_add_f32 v71, v10, v59
	v_add_f32_e32 v72, v11, v60
	ds_load_2addr_b64 v[8:11], v54 offset0:96 offset1:216
	v_add_f32_e32 v70, v55, v62
	s_waitcnt lgkmcnt(0)
	v_add_f32_e32 v105, v61, v10
	v_sub_f32_e32 v109, v77, v10
	v_add_f32_e32 v107, v62, v11
	v_add_f32_e32 v65, v59, v8
	;; [unrolled: 1-line block ×3, first 2 shown]
	v_sub_f32_e32 v55, v59, v8
	v_add_f32_e32 v59, v69, v10
	v_dual_add_f32 v69, v71, v8 :: v_dual_add_f32 v72, v72, v9
	v_sub_f32_e32 v110, v10, v77
	v_dual_sub_f32 v111, v78, v11 :: v_dual_sub_f32 v112, v11, v78
	v_sub_f32_e32 v71, v76, v9
	v_add_f32_e32 v66, v66, v73
	v_add_f32_e32 v73, v85, v109
	v_mov_b32_e32 v191, v54
	v_sub_f32_e32 v106, v62, v11
	v_sub_f32_e32 v54, v60, v9
	v_add_f32_e32 v60, v70, v11
	v_sub_f32_e32 v62, v8, v75
	v_fma_f32 v85, -0.5, v105, v6
	v_sub_f32_e32 v108, v61, v10
	v_sub_f32_e32 v61, v9, v76
	v_fma_f32 v56, -0.5, v56, v0
	v_sub_f32_e32 v70, v75, v8
	ds_load_2addr_b64 v[8:11], v247 offset0:96 offset1:216
	ds_load_2addr_b64 v[88:91], v180 offset0:48 offset1:168
	;; [unrolled: 1-line block ×4, first 2 shown]
	v_dual_add_f32 v114, v60, v78 :: v_dual_add_f32 v113, v59, v77
	v_add_f32_e32 v59, v69, v75
	v_add_f32_e32 v36, v36, v43
	v_fma_f32 v0, -0.5, v39, v0
	v_fma_f32 v14, -0.5, v14, v2
	;; [unrolled: 1-line block ×3, first 2 shown]
	s_waitcnt lgkmcnt(2)
	v_add_f32_e32 v101, v11, v91
	v_add_f32_e32 v79, v8, v88
	;; [unrolled: 1-line block ×3, first 2 shown]
	v_dual_add_f32 v74, v87, v111 :: v_dual_fmamk_f32 v111, v33, 0xbf737871, v63
	s_waitcnt lgkmcnt(1)
	v_add_f32_e32 v119, v101, v100
	ds_load_2addr_b64 v[101:104], v182 offset0:80 offset1:200
	v_add_f32_e32 v60, v72, v76
	s_waitcnt lgkmcnt(1)
	v_sub_f32_e32 v76, v89, v94
	v_sub_f32_e32 v116, v89, v98
	;; [unrolled: 1-line block ×3, first 2 shown]
	v_add_f32_e32 v117, v79, v97
	v_fma_f32 v87, -0.5, v107, v7
	v_dual_fmac_f32 v111, 0xbf167918, v29 :: v_dual_add_f32 v82, v89, v94
	v_fma_f32 v7, -0.5, v47, v7
	v_dual_add_f32 v80, v9, v89 :: v_dual_add_f32 v89, v10, v90
	v_sub_f32_e32 v81, v90, v99
	v_sub_f32_e32 v77, v99, v90
	v_fmamk_f32 v109, v32, 0x3f737871, v56
	s_delay_alu instid0(VALU_DEP_4)
	v_dual_add_f32 v118, v80, v98 :: v_dual_add_f32 v89, v89, v99
	v_add_f32_e32 v83, v88, v93
	v_sub_f32_e32 v115, v88, v97
	v_sub_f32_e32 v75, v90, v95
	s_waitcnt lgkmcnt(0)
	v_add_f32_e32 v122, v99, v103
	v_sub_f32_e32 v79, v99, v103
	v_add_f32_e32 v99, v117, v101
	v_dual_sub_f32 v78, v88, v93 :: v_dual_add_f32 v37, v37, v44
	v_dual_add_f32 v120, v97, v101 :: v_dual_add_f32 v117, v118, v102
	v_dual_add_f32 v89, v89, v103 :: v_dual_add_f32 v118, v119, v104
	v_sub_f32_e32 v119, v93, v101
	v_add_f32_e32 v99, v99, v93
	v_fmac_f32_e32 v109, 0x3f167918, v28
	v_sub_f32_e32 v86, v97, v88
	v_sub_f32_e32 v97, v97, v101
	;; [unrolled: 1-line block ×3, first 2 shown]
	v_fmamk_f32 v93, v42, 0x3f737871, v85
	v_fmac_f32_e32 v109, 0x3e9e377a, v66
	v_sub_f32_e32 v69, v91, v96
	v_fma_f32 v1, -0.5, v38, v1
	s_delay_alu instid0(VALU_DEP_4) | instskip(SKIP_3) | instid1(VALU_DEP_4)
	v_dual_add_f32 v72, v90, v95 :: v_dual_fmac_f32 v93, 0x3f167918, v106
	v_dual_sub_f32 v90, v91, v100 :: v_dual_sub_f32 v121, v98, v102
	v_add_f32_e32 v98, v98, v102
	v_sub_f32_e32 v123, v102, v94
	v_dual_fmac_f32 v93, 0x3e9e377a, v73 :: v_dual_sub_f32 v102, v94, v102
	v_add_f32_e32 v117, v117, v94
	v_fmamk_f32 v94, v45, 0xbf737871, v87
	v_dual_fmac_f32 v85, 0xbf737871, v42 :: v_dual_fmac_f32 v56, 0xbf737871, v32
	s_delay_alu instid0(VALU_DEP_4)
	v_mul_f32_e32 v107, 0xbf167918, v93
	v_add_f32_e32 v43, v49, v112
	v_fmamk_f32 v49, v29, 0x3f737871, v1
	v_dual_fmac_f32 v1, 0xbf737871, v29 :: v_dual_sub_f32 v80, v100, v104
	v_fmac_f32_e32 v94, 0xbf167918, v108
	v_fmac_f32_e32 v63, 0x3f737871, v33
	;; [unrolled: 1-line block ×3, first 2 shown]
	s_delay_alu instid0(VALU_DEP_4) | instskip(NEXT) | instid1(VALU_DEP_4)
	v_dual_fmac_f32 v1, 0x3f167918, v33 :: v_dual_sub_f32 v124, v95, v103
	v_dual_sub_f32 v103, v103, v95 :: v_dual_fmac_f32 v94, 0x3e9e377a, v74
	v_mul_f32_e32 v105, 0x3f4f1bbd, v93
	s_delay_alu instid0(VALU_DEP_3)
	v_fmac_f32_e32 v1, 0x3e9e377a, v37
	v_fmamk_f32 v44, v28, 0xbf737871, v0
	v_fmac_f32_e32 v0, 0x3f737871, v28
	v_fma_f32 v6, -0.5, v48, v6
	v_fmac_f32_e32 v63, 0x3f167918, v29
	v_fmac_f32_e32 v85, 0x3e9e377a, v73
	v_fmac_f32_e32 v44, 0x3f167918, v32
	v_fmac_f32_e32 v0, 0xbf167918, v32
	v_fmac_f32_e32 v105, 0x3f167918, v94
	v_fmac_f32_e32 v107, 0x3f4f1bbd, v94
	s_delay_alu instid0(VALU_DEP_4) | instskip(SKIP_4) | instid1(VALU_DEP_4)
	v_dual_add_f32 v13, v13, v110 :: v_dual_fmac_f32 v44, 0x3e9e377a, v36
	v_fmac_f32_e32 v87, 0x3f737871, v45
	v_dual_fmac_f32 v49, 0xbf167918, v33 :: v_dual_add_f32 v88, v91, v96
	v_sub_f32_e32 v91, v100, v91
	v_add_f32_e32 v100, v100, v104
	v_fmac_f32_e32 v87, 0x3f167918, v108
	v_fmac_f32_e32 v0, 0x3e9e377a, v36
	v_fmamk_f32 v36, v106, 0xbf737871, v6
	v_fmac_f32_e32 v49, 0x3e9e377a, v37
	v_fmac_f32_e32 v6, 0x3f737871, v106
	v_dual_fmac_f32 v56, 0xbf167918, v28 :: v_dual_fmac_f32 v3, -0.5, v22
	s_delay_alu instid0(VALU_DEP_4) | instskip(SKIP_3) | instid1(VALU_DEP_4)
	v_dual_fmac_f32 v36, 0x3f167918, v42 :: v_dual_sub_f32 v125, v104, v96
	v_mul_lo_u16 v93, v92, 10
	v_add_f32_e32 v89, v89, v95
	v_add_f32_e32 v95, v109, v105
	v_fmac_f32_e32 v36, 0x3e9e377a, v13
	s_delay_alu instid0(VALU_DEP_4)
	v_and_b32_e32 v93, 0xffff, v93
	s_barrier
	buffer_gl0_inv
	v_mul_f32_e32 v47, 0xbf737871, v36
	v_fmac_f32_e32 v87, 0x3e9e377a, v74
	v_lshlrev_b32_e32 v217, 3, v93
	v_add_f32_e32 v93, v40, v113
	v_dual_add_f32 v33, v27, v117 :: v_dual_add_f32 v32, v26, v99
	s_delay_alu instid0(VALU_DEP_4) | instskip(NEXT) | instid1(VALU_DEP_1)
	v_mul_f32_e32 v28, 0xbf4f1bbd, v87
	v_fmac_f32_e32 v28, 0xbf167918, v85
	v_fmac_f32_e32 v6, 0xbf167918, v42
	s_delay_alu instid0(VALU_DEP_1) | instskip(SKIP_2) | instid1(VALU_DEP_2)
	v_fmac_f32_e32 v6, 0x3e9e377a, v13
	v_fmamk_f32 v13, v108, 0x3f737871, v7
	v_fmac_f32_e32 v7, 0xbf737871, v108
	v_dual_fmac_f32 v13, 0xbf167918, v45 :: v_dual_sub_f32 v104, v96, v104
	s_delay_alu instid0(VALU_DEP_2) | instskip(NEXT) | instid1(VALU_DEP_2)
	v_dual_fmac_f32 v7, 0x3f167918, v45 :: v_dual_add_f32 v118, v118, v96
	v_fmac_f32_e32 v13, 0x3e9e377a, v43
	s_delay_alu instid0(VALU_DEP_2) | instskip(NEXT) | instid1(VALU_DEP_2)
	v_fmac_f32_e32 v7, 0x3e9e377a, v43
	v_mul_f32_e32 v43, 0x3f737871, v13
	v_fmac_f32_e32 v111, 0x3e9e377a, v68
	v_fmac_f32_e32 v47, 0x3e9e377a, v13
	v_mul_f32_e32 v13, 0xbe9e377a, v6
	v_dual_add_f32 v94, v41, v114 :: v_dual_fmac_f32 v63, 0x3e9e377a, v68
	s_delay_alu instid0(VALU_DEP_4) | instskip(NEXT) | instid1(VALU_DEP_3)
	v_dual_add_f32 v96, v111, v107 :: v_dual_fmac_f32 v43, 0x3e9e377a, v36
	v_fmac_f32_e32 v13, 0x3f737871, v7
	v_mul_f32_e32 v7, 0xbe9e377a, v7
	v_dual_add_f32 v37, v49, v47 :: v_dual_fmac_f32 v56, 0x3e9e377a, v66
	s_delay_alu instid0(VALU_DEP_4) | instskip(NEXT) | instid1(VALU_DEP_3)
	v_add_f32_e32 v36, v44, v43
	v_dual_add_f32 v38, v0, v13 :: v_dual_fmac_f32 v7, 0xbf737871, v6
	s_delay_alu instid0(VALU_DEP_1) | instskip(NEXT) | instid1(VALU_DEP_1)
	v_dual_mul_f32 v6, 0xbf4f1bbd, v85 :: v_dual_add_f32 v39, v1, v7
	v_fmac_f32_e32 v6, 0x3f167918, v87
	ds_store_b128 v217, v[93:96]
	ds_store_b128 v217, v[36:39] offset:16
	v_dual_sub_f32 v38, v40, v113 :: v_dual_sub_f32 v39, v41, v114
	v_dual_add_f32 v36, v56, v6 :: v_dual_add_f32 v37, v63, v28
	ds_store_b128 v217, v[36:39] offset:32
	v_sub_f32_e32 v36, v109, v105
	v_sub_f32_e32 v38, v44, v43
	;; [unrolled: 1-line block ×4, first 2 shown]
	v_add_co_u32 v44, null, 0x78, v138
	ds_store_b128 v217, v[36:39] offset:48
	v_sub_f32_e32 v39, v63, v28
	v_fma_f32 v28, -0.5, v98, v9
	v_dual_sub_f32 v37, v1, v7 :: v_dual_sub_f32 v36, v0, v13
	v_dual_add_f32 v0, v24, v34 :: v_dual_add_f32 v1, v25, v35
	s_delay_alu instid0(VALU_DEP_3) | instskip(SKIP_3) | instid1(VALU_DEP_4)
	v_dual_fmamk_f32 v7, v78, 0xbf737871, v28 :: v_dual_add_f32 v24, v116, v102
	v_fma_f32 v25, -0.5, v120, v8
	v_add_f32_e32 v13, v115, v119
	v_fma_f32 v9, -0.5, v82, v9
	v_fmac_f32_e32 v7, 0xbf167918, v97
	v_fmac_f32_e32 v28, 0x3f737871, v78
	v_and_b32_e32 v45, 0xff, v44
	s_delay_alu instid0(VALU_DEP_4) | instskip(NEXT) | instid1(VALU_DEP_4)
	v_fmamk_f32 v21, v97, 0x3f737871, v9
	v_dual_fmac_f32 v7, 0x3e9e377a, v24 :: v_dual_sub_f32 v38, v56, v6
	v_fmamk_f32 v6, v76, 0x3f737871, v25
	v_fmac_f32_e32 v25, 0xbf737871, v76
	s_delay_alu instid0(VALU_DEP_4) | instskip(SKIP_4) | instid1(VALU_DEP_3)
	v_fmac_f32_e32 v21, 0xbf167918, v78
	v_fmac_f32_e32 v28, 0x3f167918, v97
	;; [unrolled: 1-line block ×4, first 2 shown]
	v_add_co_u32 v56, null, 0xf0, v138
	v_fmac_f32_e32 v9, 0x3f167918, v78
	s_delay_alu instid0(VALU_DEP_3) | instskip(NEXT) | instid1(VALU_DEP_1)
	v_fmac_f32_e32 v6, 0x3e9e377a, v13
	v_mul_f32_e32 v29, 0x3f4f1bbd, v6
	s_delay_alu instid0(VALU_DEP_1)
	v_fmac_f32_e32 v29, 0x3f167918, v7
	ds_store_b128 v217, v[36:39] offset:64
	v_fmamk_f32 v37, v17, 0x3f737871, v14
	v_fmamk_f32 v38, v18, 0xbf737871, v23
	v_fmac_f32_e32 v14, 0xbf737871, v17
	v_fmac_f32_e32 v25, 0xbf167918, v121
	s_delay_alu instid0(VALU_DEP_4) | instskip(NEXT) | instid1(VALU_DEP_4)
	v_fmac_f32_e32 v37, 0x3f167918, v15
	v_fmac_f32_e32 v38, 0xbf167918, v16
	s_delay_alu instid0(VALU_DEP_3) | instskip(SKIP_1) | instid1(VALU_DEP_4)
	v_dual_fmac_f32 v28, 0x3e9e377a, v24 :: v_dual_fmac_f32 v25, 0x3e9e377a, v13
	v_fmac_f32_e32 v14, 0xbf167918, v15
	v_fmac_f32_e32 v37, 0x3e9e377a, v0
	v_mul_f32_e32 v36, 0xbf167918, v6
	v_mul_u32_u24_e32 v6, 10, v44
	s_delay_alu instid0(VALU_DEP_2) | instskip(SKIP_4) | instid1(VALU_DEP_3)
	v_fmac_f32_e32 v36, 0x3f4f1bbd, v7
	v_add_f32_e32 v7, v20, v31
	v_fmamk_f32 v20, v16, 0x3f737871, v3
	v_dual_fmac_f32 v3, 0xbf737871, v16 :: v_dual_add_f32 v34, v37, v29
	v_lshlrev_b32_e32 v219, 3, v6
	v_fmac_f32_e32 v20, 0xbf167918, v18
	s_delay_alu instid0(VALU_DEP_3) | instskip(SKIP_1) | instid1(VALU_DEP_3)
	v_fmac_f32_e32 v3, 0x3f167918, v18
	v_fmac_f32_e32 v38, 0x3e9e377a, v1
	;; [unrolled: 1-line block ×3, first 2 shown]
	s_delay_alu instid0(VALU_DEP_3)
	v_fmac_f32_e32 v3, 0x3e9e377a, v7
	v_fma_f32 v7, -0.5, v83, v8
	v_add_f32_e32 v6, v12, v30
	v_fmamk_f32 v12, v15, 0xbf737871, v2
	v_fmac_f32_e32 v2, 0x3f737871, v15
	v_mul_f32_e32 v15, 0xbf4f1bbd, v28
	v_fmamk_f32 v8, v121, 0xbf737871, v7
	v_fmac_f32_e32 v7, 0x3f737871, v121
	v_fmac_f32_e32 v12, 0x3f167918, v17
	s_delay_alu instid0(VALU_DEP_4) | instskip(SKIP_2) | instid1(VALU_DEP_4)
	v_fmac_f32_e32 v15, 0xbf167918, v25
	v_fmac_f32_e32 v14, 0x3e9e377a, v0
	;; [unrolled: 1-line block ×5, first 2 shown]
	s_delay_alu instid0(VALU_DEP_3) | instskip(SKIP_2) | instid1(VALU_DEP_3)
	v_fmac_f32_e32 v23, 0x3f167918, v16
	v_fma_f32 v16, -0.5, v65, v4
	v_fma_f32 v4, -0.5, v50, v4
	v_fmac_f32_e32 v23, 0x3e9e377a, v1
	v_fmac_f32_e32 v2, 0xbf167918, v17
	;; [unrolled: 1-line block ×3, first 2 shown]
	v_fma_f32 v17, -0.5, v67, v5
	v_fmamk_f32 v18, v46, 0x3f737871, v16
	v_fmac_f32_e32 v16, 0xbf737871, v46
	v_fmac_f32_e32 v2, 0x3e9e377a, v6
	v_add_f32_e32 v6, v86, v101
	s_delay_alu instid0(VALU_DEP_4) | instskip(NEXT) | instid1(VALU_DEP_4)
	v_dual_fmac_f32 v5, -0.5, v57 :: v_dual_fmac_f32 v18, 0x3f167918, v54
	v_fmac_f32_e32 v16, 0xbf167918, v54
	s_delay_alu instid0(VALU_DEP_3) | instskip(SKIP_1) | instid1(VALU_DEP_2)
	v_fmac_f32_e32 v8, 0x3e9e377a, v6
	v_dual_fmac_f32 v7, 0x3e9e377a, v6 :: v_dual_add_f32 v6, v84, v123
	v_mul_f32_e32 v30, 0xbf737871, v8
	s_delay_alu instid0(VALU_DEP_2) | instskip(NEXT) | instid1(VALU_DEP_1)
	v_fmac_f32_e32 v9, 0x3e9e377a, v6
	v_mul_f32_e32 v31, 0xbe9e377a, v9
	v_fmac_f32_e32 v21, 0x3e9e377a, v6
	s_delay_alu instid0(VALU_DEP_2) | instskip(NEXT) | instid1(VALU_DEP_1)
	v_fmac_f32_e32 v31, 0xbf737871, v7
	v_dual_mul_f32 v22, 0x3f737871, v21 :: v_dual_sub_f32 v1, v3, v31
	s_delay_alu instid0(VALU_DEP_1) | instskip(SKIP_2) | instid1(VALU_DEP_3)
	v_fmac_f32_e32 v22, 0x3e9e377a, v8
	v_fmac_f32_e32 v30, 0x3e9e377a, v21
	v_mul_f32_e32 v21, 0xbe9e377a, v7
	v_dual_mul_f32 v13, 0xbf4f1bbd, v25 :: v_dual_add_f32 v6, v12, v22
	s_delay_alu instid0(VALU_DEP_3) | instskip(NEXT) | instid1(VALU_DEP_3)
	v_add_f32_e32 v7, v20, v30
	v_fmac_f32_e32 v21, 0x3f737871, v9
	v_add_f32_e32 v35, v38, v36
	v_add_f32_e32 v9, v3, v31
	v_fmac_f32_e32 v13, 0x3f167918, v28
	s_delay_alu instid0(VALU_DEP_4)
	v_dual_sub_f32 v3, v23, v15 :: v_dual_add_f32 v8, v2, v21
	ds_store_b128 v219, v[32:35]
	v_sub_f32_e32 v0, v2, v21
	v_sub_f32_e32 v2, v14, v13
	v_mul_u32_u24_e32 v21, 10, v56
	ds_store_b128 v219, v[6:9] offset:16
	v_sub_f32_e32 v9, v27, v117
	v_dual_add_f32 v6, v14, v13 :: v_dual_add_f32 v7, v23, v15
	v_fma_f32 v13, -0.5, v100, v11
	v_sub_f32_e32 v8, v26, v99
	ds_store_b128 v219, v[0:3] offset:64
	v_lshlrev_b32_e32 v235, 3, v21
	v_fmamk_f32 v23, v54, 0xbf737871, v4
	v_fmamk_f32 v1, v75, 0xbf737871, v13
	ds_store_b128 v219, v[6:9] offset:32
	v_sub_f32_e32 v6, v37, v29
	v_dual_sub_f32 v8, v12, v22 :: v_dual_sub_f32 v7, v38, v36
	v_sub_f32_e32 v9, v20, v30
	v_fma_f32 v12, -0.5, v122, v10
	v_fmac_f32_e32 v1, 0xbf167918, v79
	v_fmamk_f32 v20, v51, 0xbf737871, v17
	v_add_f32_e32 v22, v52, v62
	ds_store_b128 v219, v[6:9] offset:48
	v_dual_add_f32 v9, v90, v104 :: v_dual_fmamk_f32 v0, v69, 0x3f737871, v12
	v_dual_fmac_f32 v12, 0xbf737871, v69 :: v_dual_add_f32 v7, v64, v71
	v_dual_fmac_f32 v4, 0x3f737871, v54 :: v_dual_fmac_f32 v17, 0x3f737871, v51
	s_delay_alu instid0(VALU_DEP_3) | instskip(NEXT) | instid1(VALU_DEP_4)
	v_fmac_f32_e32 v0, 0x3f167918, v80
	v_dual_fmac_f32 v1, 0x3e9e377a, v9 :: v_dual_add_f32 v8, v81, v124
	s_delay_alu instid0(VALU_DEP_4) | instskip(SKIP_2) | instid1(VALU_DEP_4)
	v_fmac_f32_e32 v12, 0xbf167918, v80
	v_fmac_f32_e32 v11, -0.5, v88
	v_fmac_f32_e32 v23, 0x3f167918, v46
	v_fmac_f32_e32 v0, 0x3e9e377a, v8
	v_add_f32_e32 v6, v53, v70
	s_delay_alu instid0(VALU_DEP_3) | instskip(NEXT) | instid1(VALU_DEP_3)
	v_fmac_f32_e32 v23, 0x3e9e377a, v22
	v_mul_f32_e32 v15, 0xbf167918, v0
	v_mul_f32_e32 v14, 0x3f4f1bbd, v0
	s_delay_alu instid0(VALU_DEP_4)
	v_fmac_f32_e32 v18, 0x3e9e377a, v6
	v_fmac_f32_e32 v16, 0x3e9e377a, v6
	v_add_f32_e32 v0, v59, v89
	v_fmac_f32_e32 v15, 0x3f4f1bbd, v1
	v_fmac_f32_e32 v12, 0x3e9e377a, v8
	;; [unrolled: 1-line block ×3, first 2 shown]
	v_fmamk_f32 v24, v55, 0x3f737871, v5
	v_fmac_f32_e32 v13, 0x3f737871, v75
	v_fmac_f32_e32 v5, 0xbf737871, v55
	v_mul_f32_e32 v6, 0xbf4f1bbd, v12
	v_fmac_f32_e32 v17, 0x3f167918, v55
	v_fmac_f32_e32 v24, 0xbf167918, v51
	v_dual_fmac_f32 v13, 0x3f167918, v79 :: v_dual_add_f32 v2, v18, v14
	v_add_f32_e32 v1, v60, v118
	s_delay_alu instid0(VALU_DEP_4) | instskip(SKIP_1) | instid1(VALU_DEP_1)
	v_fmac_f32_e32 v17, 0x3e9e377a, v7
	v_fmac_f32_e32 v4, 0xbf167918, v46
	v_dual_fmac_f32 v13, 0x3e9e377a, v9 :: v_dual_fmac_f32 v4, 0x3e9e377a, v22
	v_dual_add_f32 v22, v58, v61 :: v_dual_fmac_f32 v5, 0x3f167918, v51
	s_delay_alu instid0(VALU_DEP_1) | instskip(SKIP_1) | instid1(VALU_DEP_1)
	v_fmac_f32_e32 v24, 0x3e9e377a, v22
	v_fmac_f32_e32 v20, 0xbf167918, v55
	v_dual_fmac_f32 v5, 0x3e9e377a, v22 :: v_dual_fmac_f32 v20, 0x3e9e377a, v7
	v_mul_f32_e32 v7, 0xbf4f1bbd, v13
	s_delay_alu instid0(VALU_DEP_2) | instskip(NEXT) | instid1(VALU_DEP_2)
	v_dual_fmac_f32 v6, 0x3f167918, v13 :: v_dual_add_f32 v3, v20, v15
	v_fmac_f32_e32 v7, 0xbf167918, v12
	ds_store_b128 v235, v[0:3]
	v_fma_f32 v2, -0.5, v72, v10
	v_fmamk_f32 v10, v79, 0x3f737871, v11
	v_dual_add_f32 v0, v77, v103 :: v_dual_add_f32 v1, v91, v125
	v_fmac_f32_e32 v11, 0xbf737871, v79
	s_delay_alu instid0(VALU_DEP_4) | instskip(SKIP_2) | instid1(VALU_DEP_4)
	v_fmamk_f32 v3, v80, 0xbf737871, v2
	v_fmac_f32_e32 v2, 0x3f737871, v80
	v_fmac_f32_e32 v10, 0xbf167918, v75
	;; [unrolled: 1-line block ×3, first 2 shown]
	s_delay_alu instid0(VALU_DEP_4) | instskip(NEXT) | instid1(VALU_DEP_4)
	v_fmac_f32_e32 v3, 0x3f167918, v69
	v_fmac_f32_e32 v2, 0xbf167918, v69
	s_delay_alu instid0(VALU_DEP_4) | instskip(NEXT) | instid1(VALU_DEP_2)
	v_fmac_f32_e32 v10, 0x3e9e377a, v1
	v_dual_fmac_f32 v11, 0x3e9e377a, v1 :: v_dual_fmac_f32 v2, 0x3e9e377a, v0
	s_delay_alu instid0(VALU_DEP_2) | instskip(NEXT) | instid1(VALU_DEP_2)
	v_mul_f32_e32 v22, 0x3f737871, v10
	v_mul_f32_e32 v21, 0xbe9e377a, v2
	v_fmac_f32_e32 v3, 0x3e9e377a, v0
	s_delay_alu instid0(VALU_DEP_2) | instskip(SKIP_1) | instid1(VALU_DEP_3)
	v_fmac_f32_e32 v21, 0x3f737871, v11
	v_mul_f32_e32 v11, 0xbe9e377a, v11
	v_mul_f32_e32 v25, 0xbf737871, v3
	s_delay_alu instid0(VALU_DEP_1) | instskip(NEXT) | instid1(VALU_DEP_3)
	v_dual_fmac_f32 v22, 0x3e9e377a, v3 :: v_dual_fmac_f32 v25, 0x3e9e377a, v10
	v_fmac_f32_e32 v11, 0xbf737871, v2
	s_delay_alu instid0(VALU_DEP_2) | instskip(SKIP_1) | instid1(VALU_DEP_4)
	v_add_f32_e32 v0, v23, v22
	v_add_f32_e32 v2, v4, v21
	;; [unrolled: 1-line block ×3, first 2 shown]
	s_delay_alu instid0(VALU_DEP_4)
	v_add_f32_e32 v3, v5, v11
	ds_store_b128 v235, v[0:3] offset:16
	v_dual_sub_f32 v2, v59, v89 :: v_dual_sub_f32 v3, v60, v118
	v_dual_add_f32 v0, v16, v6 :: v_dual_add_f32 v1, v17, v7
	ds_store_b128 v235, v[0:3] offset:32
	v_sub_f32_e32 v0, v18, v14
	v_dual_sub_f32 v2, v23, v22 :: v_dual_sub_f32 v1, v20, v15
	v_sub_f32_e32 v3, v24, v25
	v_dual_mov_b32 v15, v138 :: v_dual_mov_b32 v18, v180
	ds_store_b128 v235, v[0:3] offset:48
	v_dual_sub_f32 v0, v4, v21 :: v_dual_sub_f32 v1, v5, v11
	v_dual_sub_f32 v2, v16, v6 :: v_dual_sub_f32 v3, v17, v7
	v_mov_b32_e32 v17, v184
	ds_store_b128 v235, v[0:3] offset:64
	v_and_b32_e32 v0, 0xff, v92
	s_waitcnt lgkmcnt(0)
	s_barrier
	buffer_gl0_inv
	v_mul_lo_u16 v0, 0xcd, v0
	s_delay_alu instid0(VALU_DEP_1) | instskip(SKIP_1) | instid1(VALU_DEP_1)
	v_lshrrev_b16 v80, 11, v0
	v_mul_lo_u16 v0, 0xcd, v45
	v_lshrrev_b16 v4, 11, v0
	s_delay_alu instid0(VALU_DEP_3) | instskip(NEXT) | instid1(VALU_DEP_2)
	v_mul_lo_u16 v0, v80, 10
	v_mul_lo_u16 v1, v4, 10
	s_delay_alu instid0(VALU_DEP_2) | instskip(NEXT) | instid1(VALU_DEP_2)
	v_sub_nc_u16 v0, v92, v0
	v_sub_nc_u16 v1, v44, v1
	s_delay_alu instid0(VALU_DEP_2) | instskip(NEXT) | instid1(VALU_DEP_1)
	v_and_b32_e32 v85, 0xff, v0
	v_mad_u64_u32 v[5:6], null, 0x48, v85, s[10:11]
	s_clause 0x3
	global_load_b128 v[249:252], v[5:6], off
	global_load_b128 v[208:211], v[5:6], off offset:16
	global_load_b128 v[20:23], v[5:6], off offset:32
	;; [unrolled: 1-line block ×3, first 2 shown]
	v_and_b32_e32 v46, 0xff, v1
	ds_load_2addr_b64 v[0:3], v192 offset0:80 offset1:200
	global_load_b64 v[245:246], v[5:6], off offset:64
	s_waitcnt vmcnt(4) lgkmcnt(0)
	v_mul_f32_e32 v7, v1, v252
	v_mul_f32_e32 v95, v0, v252
	s_delay_alu instid0(VALU_DEP_2) | instskip(SKIP_1) | instid1(VALU_DEP_3)
	v_fma_f32 v96, v0, v251, -v7
	v_mad_u64_u32 v[7:8], null, 0x48, v46, s[10:11]
	v_fmac_f32_e32 v95, v1, v251
	s_clause 0x3
	global_load_b128 v[212:215], v[7:8], off
	global_load_b128 v[239:242], v[7:8], off offset:16
	global_load_b128 v[28:31], v[7:8], off offset:32
	;; [unrolled: 1-line block ×3, first 2 shown]
	s_waitcnt vmcnt(3)
	v_mul_f32_e32 v0, v3, v215
	v_mul_f32_e32 v73, v2, v215
	s_delay_alu instid0(VALU_DEP_2) | instskip(NEXT) | instid1(VALU_DEP_2)
	v_fma_f32 v75, v2, v214, -v0
	v_fmac_f32_e32 v73, v3, v214
	ds_load_2addr_b64 v[0:3], v186 offset0:32 offset1:152
	s_waitcnt lgkmcnt(0)
	v_mul_f32_e32 v9, v1, v211
	s_waitcnt vmcnt(2)
	v_dual_mul_f32 v99, v0, v211 :: v_dual_mul_f32 v78, v2, v242
	s_delay_alu instid0(VALU_DEP_2) | instskip(SKIP_1) | instid1(VALU_DEP_3)
	v_fma_f32 v100, v0, v210, -v9
	v_mul_f32_e32 v0, v3, v242
	v_dual_fmac_f32 v99, v1, v210 :: v_dual_fmac_f32 v78, v3, v241
	s_delay_alu instid0(VALU_DEP_2)
	v_fma_f32 v82, v2, v241, -v0
	ds_load_2addr_b64 v[0:3], v190 offset0:112 offset1:232
	s_waitcnt lgkmcnt(0)
	v_mul_f32_e32 v9, v1, v23
	v_mul_f32_e32 v101, v0, v23
	s_waitcnt vmcnt(1)
	v_mul_f32_e32 v83, v2, v31
	s_delay_alu instid0(VALU_DEP_3) | instskip(NEXT) | instid1(VALU_DEP_3)
	v_fma_f32 v102, v0, v22, -v9
	v_dual_fmac_f32 v101, v1, v22 :: v_dual_mul_f32 v0, v3, v31
	s_delay_alu instid0(VALU_DEP_3) | instskip(NEXT) | instid1(VALU_DEP_3)
	v_fmac_f32_e32 v83, v3, v30
	v_sub_f32_e32 v129, v100, v102
	s_delay_alu instid0(VALU_DEP_3) | instskip(NEXT) | instid1(VALU_DEP_4)
	v_add_f32_e32 v13, v99, v101
	v_fma_f32 v84, v2, v30, -v0
	ds_load_2addr_b64 v[0:3], v189 offset0:64 offset1:184
	s_waitcnt vmcnt(0) lgkmcnt(0)
	v_mul_f32_e32 v86, v2, v39
	v_mul_f32_e32 v9, v1, v35
	s_delay_alu instid0(VALU_DEP_2) | instskip(NEXT) | instid1(VALU_DEP_2)
	v_dual_mul_f32 v103, v0, v35 :: v_dual_fmac_f32 v86, v3, v38
	v_fma_f32 v104, v0, v34, -v9
	s_delay_alu instid0(VALU_DEP_1) | instskip(NEXT) | instid1(VALU_DEP_1)
	v_dual_mul_f32 v0, v3, v39 :: v_dual_sub_f32 v127, v96, v104
	v_fma_f32 v87, v2, v38, -v0
	s_delay_alu instid0(VALU_DEP_4) | instskip(NEXT) | instid1(VALU_DEP_1)
	v_dual_fmac_f32 v103, v1, v34 :: v_dual_and_b32 v0, 0xffff, v56
	v_mul_u32_u24_e32 v0, 0xcccd, v0
	s_delay_alu instid0(VALU_DEP_1) | instskip(NEXT) | instid1(VALU_DEP_1)
	v_lshrrev_b32_e32 v59, 19, v0
	v_mul_lo_u16 v0, v59, 10
	s_delay_alu instid0(VALU_DEP_1) | instskip(NEXT) | instid1(VALU_DEP_1)
	v_sub_nc_u16 v60, v56, v0
	v_mul_lo_u16 v0, 0x48, v60
	s_delay_alu instid0(VALU_DEP_1) | instskip(NEXT) | instid1(VALU_DEP_1)
	v_and_b32_e32 v0, 0xffff, v0
	v_add_co_u32 v9, s8, s10, v0
	s_delay_alu instid0(VALU_DEP_1)
	v_add_co_ci_u32_e64 v10, null, s11, 0, s8
	ds_load_2addr_b64 v[0:3], v247 offset0:96 offset1:216
	s_clause 0x3
	global_load_b128 v[24:27], v[9:10], off
	global_load_b128 v[40:43], v[9:10], off offset:16
	global_load_b128 v[52:55], v[9:10], off offset:32
	;; [unrolled: 1-line block ×3, first 2 shown]
	s_waitcnt lgkmcnt(0)
	v_mul_f32_e32 v11, v1, v213
	s_delay_alu instid0(VALU_DEP_1) | instskip(SKIP_4) | instid1(VALU_DEP_3)
	v_fma_f32 v79, v0, v212, -v11
	s_waitcnt vmcnt(3)
	v_mul_f32_e32 v48, v2, v25
	v_mul_f32_e32 v81, v0, v213
	;; [unrolled: 1-line block ×3, first 2 shown]
	v_fmac_f32_e32 v48, v3, v24
	s_delay_alu instid0(VALU_DEP_3) | instskip(NEXT) | instid1(VALU_DEP_3)
	v_fmac_f32_e32 v81, v1, v212
	v_fma_f32 v47, v2, v24, -v0
	ds_load_2addr_b64 v[0:3], v188 offset0:64 offset1:184
	s_waitcnt lgkmcnt(0)
	v_mul_f32_e32 v11, v3, v209
	v_dual_mul_f32 v105, v2, v209 :: v_dual_mul_f32 v50, v0, v27
	s_delay_alu instid0(VALU_DEP_2) | instskip(NEXT) | instid1(VALU_DEP_2)
	v_fma_f32 v106, v2, v208, -v11
	v_dual_mul_f32 v2, v1, v27 :: v_dual_fmac_f32 v105, v3, v208
	s_delay_alu instid0(VALU_DEP_3) | instskip(NEXT) | instid1(VALU_DEP_2)
	v_fmac_f32_e32 v50, v1, v26
	v_fma_f32 v57, v0, v26, -v2
	ds_load_2addr_b64 v[0:3], v180 offset0:48 offset1:168
	s_waitcnt vmcnt(2) lgkmcnt(0)
	v_mul_f32_e32 v49, v2, v41
	v_mul_f32_e32 v11, v1, v240
	;; [unrolled: 1-line block ×3, first 2 shown]
	s_delay_alu instid0(VALU_DEP_3) | instskip(NEXT) | instid1(VALU_DEP_3)
	v_fmac_f32_e32 v49, v3, v40
	v_fma_f32 v89, v0, v239, -v11
	v_mul_f32_e32 v0, v3, v41
	s_delay_alu instid0(VALU_DEP_4) | instskip(NEXT) | instid1(VALU_DEP_2)
	v_fmac_f32_e32 v88, v1, v239
	v_fma_f32 v51, v2, v40, -v0
	ds_load_2addr_b64 v[0:3], v187 offset0:16 offset1:136
	s_waitcnt lgkmcnt(0)
	v_mul_f32_e32 v11, v3, v21
	v_dual_mul_f32 v107, v2, v21 :: v_dual_mul_f32 v62, v0, v43
	s_delay_alu instid0(VALU_DEP_2) | instskip(NEXT) | instid1(VALU_DEP_2)
	v_fma_f32 v108, v2, v20, -v11
	v_dual_mul_f32 v2, v1, v43 :: v_dual_fmac_f32 v107, v3, v20
	s_delay_alu instid0(VALU_DEP_3) | instskip(NEXT) | instid1(VALU_DEP_2)
	v_fmac_f32_e32 v62, v1, v42
	v_fma_f32 v63, v0, v42, -v2
	ds_load_2addr_b64 v[0:3], v184 offset0:128 offset1:248
	s_waitcnt vmcnt(1) lgkmcnt(0)
	v_mul_f32_e32 v58, v2, v53
	v_mul_f32_e32 v11, v1, v29
	;; [unrolled: 1-line block ×3, first 2 shown]
	s_delay_alu instid0(VALU_DEP_3) | instskip(NEXT) | instid1(VALU_DEP_3)
	v_fmac_f32_e32 v58, v3, v52
	v_fma_f32 v91, v0, v28, -v11
	v_mul_f32_e32 v0, v3, v53
	s_delay_alu instid0(VALU_DEP_4) | instskip(NEXT) | instid1(VALU_DEP_2)
	v_fmac_f32_e32 v90, v1, v28
	v_fma_f32 v61, v2, v52, -v0
	ds_load_2addr_b64 v[0:3], v191 offset0:96 offset1:216
	s_waitcnt lgkmcnt(0)
	v_mul_f32_e32 v109, v2, v33
	v_dual_mul_f32 v11, v3, v33 :: v_dual_mul_f32 v66, v0, v55
	s_delay_alu instid0(VALU_DEP_2) | instskip(NEXT) | instid1(VALU_DEP_2)
	v_fmac_f32_e32 v109, v3, v32
	v_fma_f32 v110, v2, v32, -v11
	v_mul_f32_e32 v2, v1, v55
	s_delay_alu instid0(VALU_DEP_3) | instskip(NEXT) | instid1(VALU_DEP_3)
	v_dual_fmac_f32 v66, v1, v54 :: v_dual_sub_f32 v119, v107, v109
	v_sub_f32_e32 v117, v108, v110
	s_delay_alu instid0(VALU_DEP_3)
	v_fma_f32 v67, v0, v54, -v2
	ds_load_2addr_b64 v[0:3], v182 offset0:80 offset1:200
	s_waitcnt lgkmcnt(0)
	v_mul_f32_e32 v11, v1, v37
	v_mul_f32_e32 v93, v0, v37
	s_waitcnt vmcnt(0)
	v_mul_f32_e32 v64, v2, v69
	s_delay_alu instid0(VALU_DEP_3) | instskip(NEXT) | instid1(VALU_DEP_3)
	v_fma_f32 v94, v0, v36, -v11
	v_dual_mul_f32 v0, v3, v69 :: v_dual_fmac_f32 v93, v1, v36
	s_delay_alu instid0(VALU_DEP_3) | instskip(NEXT) | instid1(VALU_DEP_2)
	v_fmac_f32_e32 v64, v3, v68
	v_fma_f32 v65, v2, v68, -v0
	ds_load_2addr_b64 v[0:3], v248 offset0:48 offset1:168
	s_clause 0x1
	global_load_b64 v[253:254], v[7:8], off offset:64
	global_load_b64 v[243:244], v[9:10], off offset:64
	ds_load_2addr_b64 v[8:11], v255 offset0:112 offset1:232
	s_waitcnt lgkmcnt(1)
	v_mul_f32_e32 v5, v3, v246
	v_dual_mul_f32 v111, v2, v246 :: v_dual_mul_f32 v74, v0, v71
	s_waitcnt lgkmcnt(0)
	v_mul_f32_e32 v121, v10, v250
	s_delay_alu instid0(VALU_DEP_3) | instskip(NEXT) | instid1(VALU_DEP_3)
	v_fma_f32 v112, v2, v245, -v5
	v_dual_mul_f32 v2, v1, v71 :: v_dual_fmac_f32 v111, v3, v245
	s_delay_alu instid0(VALU_DEP_3) | instskip(NEXT) | instid1(VALU_DEP_3)
	v_dual_fmac_f32 v74, v1, v70 :: v_dual_fmac_f32 v121, v11, v249
	v_sub_f32_e32 v118, v106, v112
	s_delay_alu instid0(VALU_DEP_3)
	v_fma_f32 v76, v0, v70, -v2
	ds_load_2addr_b64 v[0:3], v181 offset0:32 offset1:152
	v_sub_f32_e32 v122, v105, v111
	s_waitcnt vmcnt(1) lgkmcnt(0)
	v_mul_f32_e32 v5, v1, v254
	v_mul_f32_e32 v97, v0, v254
	s_waitcnt vmcnt(0)
	v_mul_f32_e32 v77, v2, v244
	s_delay_alu instid0(VALU_DEP_3) | instskip(NEXT) | instid1(VALU_DEP_3)
	v_fma_f32 v98, v0, v253, -v5
	v_dual_mul_f32 v0, v3, v244 :: v_dual_fmac_f32 v97, v1, v253
	v_sub_f32_e32 v1, v104, v102
	s_delay_alu instid0(VALU_DEP_4) | instskip(NEXT) | instid1(VALU_DEP_3)
	v_fmac_f32_e32 v77, v3, v243
	v_fma_f32 v72, v2, v243, -v0
	v_sub_f32_e32 v0, v96, v100
	s_delay_alu instid0(VALU_DEP_1) | instskip(SKIP_1) | instid1(VALU_DEP_1)
	v_dual_add_f32 v113, v0, v1 :: v_dual_sub_f32 v0, v95, v99
	v_sub_f32_e32 v1, v103, v101
	v_add_f32_e32 v114, v0, v1
	v_dual_sub_f32 v0, v106, v108 :: v_dual_sub_f32 v1, v112, v110
	s_delay_alu instid0(VALU_DEP_1) | instskip(SKIP_1) | instid1(VALU_DEP_1)
	v_dual_add_f32 v115, v0, v1 :: v_dual_sub_f32 v0, v105, v107
	v_sub_f32_e32 v1, v111, v109
	v_add_f32_e32 v116, v0, v1
	v_mul_f32_e32 v0, v11, v250
	s_delay_alu instid0(VALU_DEP_1) | instskip(SKIP_2) | instid1(VALU_DEP_2)
	v_fma_f32 v120, v10, v249, -v0
	v_add_f32_e32 v0, v108, v110
	v_add_f32_e32 v12, v121, v105
	v_fma_f32 v10, -0.5, v0, v120
	s_delay_alu instid0(VALU_DEP_1) | instskip(NEXT) | instid1(VALU_DEP_1)
	v_dual_add_f32 v0, v107, v109 :: v_dual_fmamk_f32 v1, v122, 0x3f737871, v10
	v_fma_f32 v11, -0.5, v0, v121
	s_delay_alu instid0(VALU_DEP_2) | instskip(NEXT) | instid1(VALU_DEP_2)
	v_fmac_f32_e32 v1, 0x3f167918, v119
	v_fmamk_f32 v0, v118, 0xbf737871, v11
	v_fmac_f32_e32 v11, 0x3f737871, v118
	s_delay_alu instid0(VALU_DEP_3) | instskip(NEXT) | instid1(VALU_DEP_3)
	v_fmac_f32_e32 v1, 0x3e9e377a, v115
	v_fmac_f32_e32 v0, 0xbf167918, v117
	s_delay_alu instid0(VALU_DEP_2) | instskip(NEXT) | instid1(VALU_DEP_2)
	v_mul_f32_e32 v124, 0xbf167918, v1
	v_fmac_f32_e32 v0, 0x3e9e377a, v116
	s_delay_alu instid0(VALU_DEP_1) | instskip(NEXT) | instid1(VALU_DEP_3)
	v_mul_f32_e32 v123, 0x3f167918, v0
	v_fmac_f32_e32 v124, 0x3f4f1bbd, v0
	v_and_b32_e32 v0, 0xffff, v80
	s_delay_alu instid0(VALU_DEP_3) | instskip(NEXT) | instid1(VALU_DEP_2)
	v_fmac_f32_e32 v123, 0x3f4f1bbd, v1
	v_mul_u32_u24_e32 v0, 0x64, v0
	s_delay_alu instid0(VALU_DEP_1)
	v_add_lshl_u32 v225, v0, v85, 3
	ds_load_2addr_b64 v[0:3], v19 offset1:120
	v_sub_f32_e32 v85, v99, v101
	s_waitcnt lgkmcnt(0)
	s_barrier
	buffer_gl0_inv
	scratch_store_b32 off, v15, off offset:244 ; 4-byte Folded Spill
	v_add_f32_e32 v5, v0, v96
	v_fma_f32 v126, -0.5, v13, v1
	s_delay_alu instid0(VALU_DEP_1) | instskip(NEXT) | instid1(VALU_DEP_1)
	v_dual_add_f32 v5, v5, v100 :: v_dual_fmamk_f32 v128, v127, 0xbf737871, v126
	v_dual_fmac_f32 v126, 0x3f737871, v127 :: v_dual_add_f32 v5, v5, v102
	v_add_f32_e32 v6, v100, v102
	s_delay_alu instid0(VALU_DEP_3) | instskip(NEXT) | instid1(VALU_DEP_3)
	v_fmac_f32_e32 v128, 0xbf167918, v129
	v_dual_fmac_f32 v126, 0x3f167918, v129 :: v_dual_add_f32 v125, v5, v104
	s_delay_alu instid0(VALU_DEP_3) | instskip(SKIP_1) | instid1(VALU_DEP_4)
	v_fma_f32 v7, -0.5, v6, v0
	v_dual_add_f32 v5, v1, v95 :: v_dual_add_f32 v6, v120, v106
	v_fmac_f32_e32 v128, 0x3e9e377a, v114
	s_delay_alu instid0(VALU_DEP_2) | instskip(NEXT) | instid1(VALU_DEP_3)
	v_dual_fmac_f32 v126, 0x3e9e377a, v114 :: v_dual_add_f32 v5, v5, v99
	v_add_f32_e32 v6, v6, v108
	s_delay_alu instid0(VALU_DEP_3) | instskip(NEXT) | instid1(VALU_DEP_2)
	v_dual_sub_f32 v14, v95, v103 :: v_dual_add_f32 v13, v128, v124
	v_dual_add_f32 v5, v5, v101 :: v_dual_add_f32 v6, v6, v110
	s_delay_alu instid0(VALU_DEP_2) | instskip(SKIP_1) | instid1(VALU_DEP_3)
	v_fmamk_f32 v80, v14, 0x3f737871, v7
	v_dual_add_f32 v12, v12, v107 :: v_dual_fmac_f32 v7, 0xbf737871, v14
	v_dual_add_f32 v130, v5, v103 :: v_dual_add_f32 v131, v6, v112
	s_delay_alu instid0(VALU_DEP_3) | instskip(NEXT) | instid1(VALU_DEP_2)
	v_fmac_f32_e32 v80, 0x3f167918, v85
	v_dual_add_f32 v12, v12, v109 :: v_dual_add_f32 v5, v125, v131
	s_delay_alu instid0(VALU_DEP_1) | instskip(NEXT) | instid1(VALU_DEP_1)
	v_dual_fmac_f32 v80, 0x3e9e377a, v113 :: v_dual_add_f32 v137, v12, v111
	v_add_f32_e32 v12, v80, v123
	s_delay_alu instid0(VALU_DEP_2) | instskip(SKIP_4) | instid1(VALU_DEP_3)
	v_add_f32_e32 v6, v130, v137
	ds_store_2addr_b64 v225, v[5:6], v[12:13] offset1:10
	v_add_f32_e32 v13, v95, v103
	v_sub_f32_e32 v5, v100, v96
	v_fmac_f32_e32 v7, 0xbf167918, v85
	v_fma_f32 v13, -0.5, v13, v1
	v_sub_f32_e32 v6, v102, v104
	v_dual_add_f32 v12, v96, v104 :: v_dual_add_f32 v1, v105, v111
	s_delay_alu instid0(VALU_DEP_4) | instskip(NEXT) | instid1(VALU_DEP_3)
	v_fmac_f32_e32 v7, 0x3e9e377a, v113
	v_dual_add_f32 v5, v5, v6 :: v_dual_sub_f32 v6, v99, v95
	v_sub_f32_e32 v95, v101, v103
	v_fmamk_f32 v99, v129, 0x3f737871, v13
	v_fmac_f32_e32 v13, 0xbf737871, v129
	v_fma_f32 v12, -0.5, v12, v0
	s_delay_alu instid0(VALU_DEP_4) | instskip(SKIP_1) | instid1(VALU_DEP_3)
	v_dual_fmac_f32 v121, -0.5, v1 :: v_dual_add_f32 v0, v6, v95
	v_dual_sub_f32 v1, v107, v105 :: v_dual_add_f32 v6, v106, v112
	v_fmamk_f32 v96, v85, 0xbf737871, v12
	v_dual_fmac_f32 v12, 0x3f737871, v85 :: v_dual_sub_f32 v95, v110, v112
	s_delay_alu instid0(VALU_DEP_3) | instskip(NEXT) | instid1(VALU_DEP_3)
	v_dual_fmac_f32 v99, 0xbf167918, v127 :: v_dual_fmac_f32 v120, -0.5, v6
	v_dual_fmac_f32 v96, 0x3f167918, v14 :: v_dual_fmac_f32 v13, 0x3f167918, v127
	s_delay_alu instid0(VALU_DEP_3) | instskip(NEXT) | instid1(VALU_DEP_3)
	v_fmac_f32_e32 v12, 0xbf167918, v14
	v_fmac_f32_e32 v99, 0x3e9e377a, v0
	v_sub_f32_e32 v85, v88, v97
	s_delay_alu instid0(VALU_DEP_4) | instskip(NEXT) | instid1(VALU_DEP_4)
	v_dual_fmac_f32 v96, 0x3e9e377a, v5 :: v_dual_fmac_f32 v13, 0x3e9e377a, v0
	v_dual_fmac_f32 v12, 0x3e9e377a, v5 :: v_dual_sub_f32 v5, v108, v106
	v_fmamk_f32 v6, v119, 0xbf737871, v120
	v_dual_fmac_f32 v120, 0x3f737871, v119 :: v_dual_sub_f32 v107, v82, v84
	v_sub_f32_e32 v105, v75, v87
	s_delay_alu instid0(VALU_DEP_4) | instskip(NEXT) | instid1(VALU_DEP_4)
	v_add_f32_e32 v0, v5, v95
	v_dual_sub_f32 v5, v109, v111 :: v_dual_fmac_f32 v6, 0x3f167918, v122
	s_delay_alu instid0(VALU_DEP_4) | instskip(NEXT) | instid1(VALU_DEP_2)
	v_fmac_f32_e32 v120, 0xbf167918, v122
	v_fmac_f32_e32 v6, 0x3e9e377a, v0
	s_delay_alu instid0(VALU_DEP_2) | instskip(NEXT) | instid1(VALU_DEP_4)
	v_fmac_f32_e32 v120, 0x3e9e377a, v0
	v_add_f32_e32 v0, v1, v5
	v_fmamk_f32 v1, v117, 0x3f737871, v121
	s_delay_alu instid0(VALU_DEP_4) | instskip(NEXT) | instid1(VALU_DEP_2)
	v_dual_fmac_f32 v121, 0xbf737871, v117 :: v_dual_mul_f32 v100, 0xbf737871, v6
	v_fmac_f32_e32 v1, 0xbf167918, v118
	s_delay_alu instid0(VALU_DEP_1) | instskip(NEXT) | instid1(VALU_DEP_1)
	v_fmac_f32_e32 v1, 0x3e9e377a, v0
	v_mul_f32_e32 v95, 0x3f737871, v1
	s_delay_alu instid0(VALU_DEP_4) | instskip(SKIP_1) | instid1(VALU_DEP_3)
	v_fmac_f32_e32 v100, 0x3e9e377a, v1
	v_fmac_f32_e32 v11, 0x3f167918, v117
	;; [unrolled: 1-line block ×5, first 2 shown]
	s_delay_alu instid0(VALU_DEP_4) | instskip(NEXT) | instid1(VALU_DEP_3)
	v_fmac_f32_e32 v11, 0x3e9e377a, v116
	v_dual_add_f32 v1, v99, v100 :: v_dual_fmac_f32 v10, 0xbf167918, v119
	s_delay_alu instid0(VALU_DEP_3) | instskip(SKIP_1) | instid1(VALU_DEP_3)
	v_fmac_f32_e32 v121, 0x3e9e377a, v0
	v_dual_mul_f32 v101, 0xbe9e377a, v120 :: v_dual_add_f32 v0, v96, v95
	v_fmac_f32_e32 v10, 0x3e9e377a, v115
	s_delay_alu instid0(VALU_DEP_3) | instskip(NEXT) | instid1(VALU_DEP_2)
	v_mul_f32_e32 v102, 0xbe9e377a, v121
	v_mul_f32_e32 v14, 0xbf4f1bbd, v10
	s_delay_alu instid0(VALU_DEP_1) | instskip(NEXT) | instid1(VALU_DEP_3)
	v_fmac_f32_e32 v14, 0x3f167918, v11
	v_fmac_f32_e32 v102, 0xbf737871, v120
	;; [unrolled: 1-line block ×3, first 2 shown]
	s_delay_alu instid0(VALU_DEP_2) | instskip(NEXT) | instid1(VALU_DEP_2)
	v_dual_mul_f32 v11, 0xbf4f1bbd, v11 :: v_dual_add_f32 v6, v13, v102
	v_add_f32_e32 v5, v12, v101
	s_delay_alu instid0(VALU_DEP_2)
	v_fmac_f32_e32 v11, 0xbf167918, v10
	ds_store_2addr_b64 v225, v[0:1], v[5:6] offset0:20 offset1:30
	v_dual_sub_f32 v0, v125, v131 :: v_dual_sub_f32 v1, v130, v137
	v_dual_add_f32 v5, v7, v14 :: v_dual_add_f32 v6, v126, v11
	ds_store_2addr_b64 v225, v[5:6], v[0:1] offset0:40 offset1:50
	v_sub_f32_e32 v0, v80, v123
	v_sub_f32_e32 v1, v128, v124
	v_dual_sub_f32 v5, v96, v95 :: v_dual_sub_f32 v6, v99, v100
	v_dual_sub_f32 v95, v90, v93 :: v_dual_sub_f32 v100, v73, v86
	ds_store_2addr_b64 v225, v[0:1], v[5:6] offset0:60 offset1:70
	v_dual_sub_f32 v0, v12, v101 :: v_dual_sub_f32 v1, v13, v102
	v_dual_sub_f32 v5, v7, v14 :: v_dual_sub_f32 v6, v126, v11
	ds_store_2addr_b64 v225, v[0:1], v[5:6] offset0:80 offset1:90
	v_sub_f32_e32 v0, v75, v82
	v_sub_f32_e32 v1, v87, v84
	s_delay_alu instid0(VALU_DEP_1) | instskip(SKIP_1) | instid1(VALU_DEP_2)
	v_dual_add_f32 v5, v78, v83 :: v_dual_add_f32 v6, v0, v1
	v_dual_sub_f32 v0, v73, v78 :: v_dual_sub_f32 v1, v86, v83
	v_fma_f32 v104, -0.5, v5, v3
	s_delay_alu instid0(VALU_DEP_2) | instskip(SKIP_2) | instid1(VALU_DEP_4)
	v_dual_add_f32 v7, v0, v1 :: v_dual_sub_f32 v0, v89, v91
	v_sub_f32_e32 v1, v98, v94
	v_sub_f32_e32 v102, v78, v83
	v_fmamk_f32 v106, v105, 0xbf737871, v104
	s_delay_alu instid0(VALU_DEP_3) | instskip(SKIP_1) | instid1(VALU_DEP_1)
	v_add_f32_e32 v10, v0, v1
	v_dual_sub_f32 v0, v88, v90 :: v_dual_sub_f32 v1, v97, v93
	v_dual_fmac_f32 v106, 0xbf167918, v107 :: v_dual_add_f32 v11, v0, v1
	v_add_f32_e32 v0, v91, v94
	s_delay_alu instid0(VALU_DEP_2) | instskip(NEXT) | instid1(VALU_DEP_2)
	v_fmac_f32_e32 v106, 0x3e9e377a, v7
	v_fma_f32 v12, -0.5, v0, v79
	s_delay_alu instid0(VALU_DEP_1) | instskip(NEXT) | instid1(VALU_DEP_1)
	v_dual_add_f32 v0, v90, v93 :: v_dual_fmamk_f32 v1, v85, 0x3f737871, v12
	v_fma_f32 v13, -0.5, v0, v81
	v_fmac_f32_e32 v12, 0xbf737871, v85
	s_delay_alu instid0(VALU_DEP_3) | instskip(NEXT) | instid1(VALU_DEP_2)
	v_fmac_f32_e32 v1, 0x3f167918, v95
	v_fmac_f32_e32 v12, 0xbf167918, v95
	s_delay_alu instid0(VALU_DEP_2) | instskip(SKIP_1) | instid1(VALU_DEP_3)
	v_fmac_f32_e32 v1, 0x3e9e377a, v10
	v_sub_f32_e32 v14, v89, v98
	v_fmac_f32_e32 v12, 0x3e9e377a, v10
	s_delay_alu instid0(VALU_DEP_3) | instskip(NEXT) | instid1(VALU_DEP_3)
	v_dual_mul_f32 v99, 0xbf167918, v1 :: v_dual_sub_f32 v80, v91, v94
	v_fmamk_f32 v0, v14, 0xbf737871, v13
	v_dual_fmac_f32 v104, 0x3f737871, v105 :: v_dual_fmac_f32 v13, 0x3f737871, v14
	s_delay_alu instid0(VALU_DEP_2) | instskip(NEXT) | instid1(VALU_DEP_2)
	v_fmac_f32_e32 v0, 0xbf167918, v80
	v_fmac_f32_e32 v104, 0x3f167918, v107
	s_delay_alu instid0(VALU_DEP_2) | instskip(NEXT) | instid1(VALU_DEP_2)
	v_fmac_f32_e32 v0, 0x3e9e377a, v11
	v_fmac_f32_e32 v104, 0x3e9e377a, v7
	s_delay_alu instid0(VALU_DEP_2) | instskip(NEXT) | instid1(VALU_DEP_1)
	v_mul_f32_e32 v96, 0x3f167918, v0
	v_dual_fmac_f32 v96, 0x3f4f1bbd, v1 :: v_dual_add_f32 v1, v82, v84
	v_fmac_f32_e32 v99, 0x3f4f1bbd, v0
	v_and_b32_e32 v0, 0xffff, v4
	v_add_f32_e32 v4, v81, v88
	v_fmac_f32_e32 v13, 0x3f167918, v80
	s_delay_alu instid0(VALU_DEP_4) | instskip(NEXT) | instid1(VALU_DEP_4)
	v_add_f32_e32 v5, v106, v99
	v_mul_u32_u24_e32 v0, 0x64, v0
	s_delay_alu instid0(VALU_DEP_3) | instskip(NEXT) | instid1(VALU_DEP_2)
	v_dual_add_f32 v4, v4, v90 :: v_dual_fmac_f32 v13, 0x3e9e377a, v11
	v_add_lshl_u32 v223, v0, v46, 3
	v_fma_f32 v46, -0.5, v1, v2
	v_add_f32_e32 v1, v79, v89
	s_delay_alu instid0(VALU_DEP_4) | instskip(SKIP_1) | instid1(VALU_DEP_4)
	v_add_f32_e32 v4, v4, v93
	v_mul_f32_e32 v7, 0xbf4f1bbd, v13
	v_fmamk_f32 v101, v100, 0x3f737871, v46
	s_delay_alu instid0(VALU_DEP_4) | instskip(SKIP_1) | instid1(VALU_DEP_4)
	v_add_f32_e32 v1, v1, v91
	v_add_f32_e32 v0, v2, v75
	v_dual_add_f32 v110, v4, v97 :: v_dual_fmac_f32 v7, 0xbf167918, v12
	s_delay_alu instid0(VALU_DEP_4) | instskip(NEXT) | instid1(VALU_DEP_4)
	v_fmac_f32_e32 v101, 0x3f167918, v102
	v_add_f32_e32 v1, v1, v94
	s_delay_alu instid0(VALU_DEP_4) | instskip(NEXT) | instid1(VALU_DEP_3)
	v_add_f32_e32 v0, v0, v82
	v_fmac_f32_e32 v101, 0x3e9e377a, v6
	s_delay_alu instid0(VALU_DEP_2) | instskip(NEXT) | instid1(VALU_DEP_1)
	v_dual_add_f32 v109, v1, v98 :: v_dual_add_f32 v0, v0, v84
	v_dual_add_f32 v103, v0, v87 :: v_dual_add_f32 v0, v3, v73
	s_delay_alu instid0(VALU_DEP_3) | instskip(NEXT) | instid1(VALU_DEP_2)
	v_add_f32_e32 v4, v101, v96
	v_add_f32_e32 v0, v0, v78
	s_delay_alu instid0(VALU_DEP_1) | instskip(NEXT) | instid1(VALU_DEP_1)
	v_add_f32_e32 v0, v0, v83
	v_add_f32_e32 v108, v0, v86
	s_delay_alu instid0(VALU_DEP_1)
	v_dual_add_f32 v0, v103, v109 :: v_dual_add_f32 v1, v108, v110
	ds_store_2addr_b64 v223, v[0:1], v[4:5] offset1:10
	v_add_f32_e32 v4, v75, v87
	v_sub_f32_e32 v0, v82, v75
	v_sub_f32_e32 v1, v84, v87
	v_dual_add_f32 v5, v73, v86 :: v_dual_sub_f32 v84, v63, v67
	s_delay_alu instid0(VALU_DEP_4) | instskip(NEXT) | instid1(VALU_DEP_2)
	v_fma_f32 v2, -0.5, v4, v2
	v_dual_add_f32 v4, v89, v98 :: v_dual_fmac_f32 v3, -0.5, v5
	s_delay_alu instid0(VALU_DEP_2) | instskip(NEXT) | instid1(VALU_DEP_2)
	v_dual_add_f32 v0, v0, v1 :: v_dual_fmamk_f32 v75, v102, 0xbf737871, v2
	v_dual_fmac_f32 v2, 0x3f737871, v102 :: v_dual_fmac_f32 v79, -0.5, v4
	v_sub_f32_e32 v1, v78, v73
	v_sub_f32_e32 v73, v83, v86
	s_delay_alu instid0(VALU_DEP_4) | instskip(NEXT) | instid1(VALU_DEP_4)
	v_fmac_f32_e32 v75, 0x3f167918, v100
	v_dual_fmac_f32 v2, 0xbf167918, v100 :: v_dual_sub_f32 v5, v94, v98
	s_delay_alu instid0(VALU_DEP_2) | instskip(NEXT) | instid1(VALU_DEP_2)
	v_dual_sub_f32 v4, v93, v97 :: v_dual_fmac_f32 v75, 0x3e9e377a, v0
	v_fmac_f32_e32 v2, 0x3e9e377a, v0
	v_dual_add_f32 v0, v1, v73 :: v_dual_fmamk_f32 v73, v107, 0x3f737871, v3
	v_fmac_f32_e32 v3, 0xbf737871, v107
	v_dual_sub_f32 v1, v91, v89 :: v_dual_fmac_f32 v46, 0xbf737871, v100
	s_delay_alu instid0(VALU_DEP_3) | instskip(NEXT) | instid1(VALU_DEP_3)
	v_fmac_f32_e32 v73, 0xbf167918, v105
	v_fmac_f32_e32 v3, 0x3f167918, v105
	s_delay_alu instid0(VALU_DEP_3) | instskip(NEXT) | instid1(VALU_DEP_3)
	v_fmac_f32_e32 v46, 0xbf167918, v102
	v_fmac_f32_e32 v73, 0x3e9e377a, v0
	s_delay_alu instid0(VALU_DEP_3) | instskip(SKIP_4) | instid1(VALU_DEP_4)
	v_dual_fmac_f32 v3, 0x3e9e377a, v0 :: v_dual_add_f32 v0, v1, v5
	v_add_f32_e32 v1, v88, v97
	v_fmamk_f32 v5, v95, 0xbf737871, v79
	v_fmac_f32_e32 v46, 0x3e9e377a, v6
	v_mul_f32_e32 v6, 0xbf4f1bbd, v12
	v_dual_sub_f32 v12, v51, v72 :: v_dual_fmac_f32 v81, -0.5, v1
	v_sub_f32_e32 v1, v90, v88
	v_fmac_f32_e32 v79, 0x3f737871, v95
	v_fmac_f32_e32 v5, 0x3f167918, v85
	s_delay_alu instid0(VALU_DEP_2) | instskip(NEXT) | instid1(VALU_DEP_2)
	v_fmac_f32_e32 v79, 0xbf167918, v85
	v_fmac_f32_e32 v5, 0x3e9e377a, v0
	s_delay_alu instid0(VALU_DEP_2) | instskip(SKIP_1) | instid1(VALU_DEP_3)
	v_fmac_f32_e32 v79, 0x3e9e377a, v0
	v_dual_add_f32 v0, v1, v4 :: v_dual_fmamk_f32 v1, v80, 0x3f737871, v81
	v_dual_fmac_f32 v81, 0xbf737871, v80 :: v_dual_mul_f32 v82, 0xbf737871, v5
	s_delay_alu instid0(VALU_DEP_2) | instskip(NEXT) | instid1(VALU_DEP_2)
	v_fmac_f32_e32 v1, 0xbf167918, v14
	v_fmac_f32_e32 v81, 0x3f167918, v14
	s_delay_alu instid0(VALU_DEP_2) | instskip(NEXT) | instid1(VALU_DEP_1)
	v_fmac_f32_e32 v1, 0x3e9e377a, v0
	v_dual_fmac_f32 v81, 0x3e9e377a, v0 :: v_dual_fmac_f32 v82, 0x3e9e377a, v1
	v_mul_f32_e32 v78, 0x3f737871, v1
	s_delay_alu instid0(VALU_DEP_2) | instskip(NEXT) | instid1(VALU_DEP_2)
	v_dual_fmac_f32 v6, 0x3f167918, v13 :: v_dual_add_f32 v1, v73, v82
	v_fmac_f32_e32 v78, 0x3e9e377a, v5
	s_delay_alu instid0(VALU_DEP_1) | instskip(NEXT) | instid1(VALU_DEP_1)
	v_dual_mul_f32 v83, 0xbe9e377a, v79 :: v_dual_add_f32 v0, v75, v78
	v_fmac_f32_e32 v83, 0x3f737871, v81
	s_delay_alu instid0(VALU_DEP_1) | instskip(NEXT) | instid1(VALU_DEP_1)
	v_dual_mul_f32 v81, 0xbe9e377a, v81 :: v_dual_add_f32 v4, v2, v83
	v_fmac_f32_e32 v81, 0xbf737871, v79
	v_sub_f32_e32 v79, v62, v66
	s_delay_alu instid0(VALU_DEP_2)
	v_add_f32_e32 v5, v3, v81
	ds_store_2addr_b64 v223, v[0:1], v[4:5] offset0:20 offset1:30
	v_dual_sub_f32 v0, v103, v109 :: v_dual_sub_f32 v1, v108, v110
	v_dual_add_f32 v4, v46, v6 :: v_dual_add_f32 v5, v104, v7
	ds_store_2addr_b64 v223, v[4:5], v[0:1] offset0:40 offset1:50
	v_dual_sub_f32 v0, v101, v96 :: v_dual_sub_f32 v1, v106, v99
	v_sub_f32_e32 v4, v75, v78
	v_sub_f32_e32 v5, v73, v82
	;; [unrolled: 1-line block ×3, first 2 shown]
	ds_store_2addr_b64 v223, v[0:1], v[4:5] offset0:60 offset1:70
	v_sub_f32_e32 v0, v2, v83
	v_dual_sub_f32 v2, v46, v6 :: v_dual_sub_f32 v1, v3, v81
	v_dual_sub_f32 v3, v104, v7 :: v_dual_sub_f32 v46, v58, v64
	v_sub_f32_e32 v14, v49, v77
	ds_store_2addr_b64 v223, v[0:1], v[2:3] offset0:80 offset1:90
	v_sub_f32_e32 v0, v57, v63
	v_sub_f32_e32 v1, v76, v67
	v_dual_add_f32 v2, v63, v67 :: v_dual_add_f32 v3, v48, v49
	s_delay_alu instid0(VALU_DEP_2) | instskip(SKIP_2) | instid1(VALU_DEP_1)
	v_add_f32_e32 v4, v0, v1
	v_sub_f32_e32 v0, v50, v62
	v_sub_f32_e32 v1, v74, v66
	v_add_f32_e32 v5, v0, v1
	v_sub_f32_e32 v0, v51, v61
	v_sub_f32_e32 v1, v72, v65
	s_delay_alu instid0(VALU_DEP_1) | instskip(SKIP_1) | instid1(VALU_DEP_1)
	v_dual_add_f32 v6, v0, v1 :: v_dual_sub_f32 v1, v77, v64
	v_sub_f32_e32 v0, v49, v58
	v_add_f32_e32 v7, v0, v1
	v_add_f32_e32 v0, v61, v65
	s_delay_alu instid0(VALU_DEP_1) | instskip(SKIP_1) | instid1(VALU_DEP_2)
	v_fma_f32 v10, -0.5, v0, v47
	v_add_f32_e32 v0, v58, v64
	v_fmamk_f32 v1, v14, 0x3f737871, v10
	s_delay_alu instid0(VALU_DEP_2) | instskip(SKIP_1) | instid1(VALU_DEP_3)
	v_fma_f32 v11, -0.5, v0, v48
	v_sub_f32_e32 v13, v61, v65
	v_fmac_f32_e32 v1, 0x3f167918, v46
	s_delay_alu instid0(VALU_DEP_3) | instskip(SKIP_1) | instid1(VALU_DEP_3)
	v_fmamk_f32 v0, v12, 0xbf737871, v11
	v_fmac_f32_e32 v11, 0x3f737871, v12
	v_fmac_f32_e32 v1, 0x3e9e377a, v6
	s_delay_alu instid0(VALU_DEP_3) | instskip(NEXT) | instid1(VALU_DEP_3)
	v_fmac_f32_e32 v0, 0xbf167918, v13
	v_fmac_f32_e32 v11, 0x3f167918, v13
	s_delay_alu instid0(VALU_DEP_3) | instskip(NEXT) | instid1(VALU_DEP_3)
	v_mul_f32_e32 v75, 0xbf167918, v1
	v_fmac_f32_e32 v0, 0x3e9e377a, v7
	s_delay_alu instid0(VALU_DEP_3) | instskip(NEXT) | instid1(VALU_DEP_2)
	v_fmac_f32_e32 v11, 0x3e9e377a, v7
	v_mul_f32_e32 v73, 0x3f167918, v0
	s_delay_alu instid0(VALU_DEP_4) | instskip(SKIP_2) | instid1(VALU_DEP_4)
	v_fmac_f32_e32 v75, 0x3f4f1bbd, v0
	v_mad_u16 v0, 0x64, v59, v60
	v_fma_f32 v59, -0.5, v2, v8
	v_dual_sub_f32 v60, v50, v74 :: v_dual_fmac_f32 v73, 0x3f4f1bbd, v1
	v_dual_add_f32 v2, v47, v51 :: v_dual_add_f32 v81, v62, v66
	s_delay_alu instid0(VALU_DEP_4) | instskip(NEXT) | instid1(VALU_DEP_3)
	v_and_b32_e32 v88, 0xffff, v0
	v_fmamk_f32 v78, v60, 0x3f737871, v59
	v_add_f32_e32 v1, v8, v57
	s_delay_alu instid0(VALU_DEP_4) | instskip(SKIP_1) | instid1(VALU_DEP_4)
	v_add_f32_e32 v2, v2, v61
	v_fma_f32 v81, -0.5, v81, v9
	v_dual_fmac_f32 v78, 0x3f167918, v79 :: v_dual_lshlrev_b32 v221, 3, v88
	s_delay_alu instid0(VALU_DEP_3) | instskip(SKIP_1) | instid1(VALU_DEP_4)
	v_dual_add_f32 v1, v1, v63 :: v_dual_add_f32 v2, v2, v65
	v_add_f32_e32 v3, v3, v58
	v_fmamk_f32 v83, v82, 0xbf737871, v81
	s_delay_alu instid0(VALU_DEP_3) | instskip(NEXT) | instid1(VALU_DEP_4)
	v_dual_fmac_f32 v78, 0x3e9e377a, v4 :: v_dual_add_f32 v1, v1, v67
	v_add_f32_e32 v86, v2, v72
	v_dual_fmac_f32 v10, 0xbf737871, v14 :: v_dual_fmac_f32 v59, 0xbf737871, v60
	s_delay_alu instid0(VALU_DEP_4) | instskip(NEXT) | instid1(VALU_DEP_4)
	v_fmac_f32_e32 v83, 0xbf167918, v84
	v_add_f32_e32 v80, v1, v76
	v_add_f32_e32 v1, v9, v50
	v_dual_add_f32 v3, v3, v64 :: v_dual_add_f32 v2, v78, v73
	s_delay_alu instid0(VALU_DEP_3) | instskip(NEXT) | instid1(VALU_DEP_3)
	v_dual_fmac_f32 v83, 0x3e9e377a, v5 :: v_dual_add_f32 v0, v80, v86
	v_add_f32_e32 v1, v1, v62
	s_delay_alu instid0(VALU_DEP_3) | instskip(SKIP_1) | instid1(VALU_DEP_4)
	v_dual_add_f32 v87, v3, v77 :: v_dual_fmac_f32 v10, 0xbf167918, v46
	v_fmac_f32_e32 v59, 0xbf167918, v79
	v_add_f32_e32 v3, v83, v75
	s_delay_alu instid0(VALU_DEP_4) | instskip(SKIP_1) | instid1(VALU_DEP_4)
	v_add_f32_e32 v1, v1, v66
	v_fmac_f32_e32 v81, 0x3f737871, v82
	v_dual_fmac_f32 v10, 0x3e9e377a, v6 :: v_dual_fmac_f32 v59, 0x3e9e377a, v4
	s_delay_alu instid0(VALU_DEP_3) | instskip(NEXT) | instid1(VALU_DEP_3)
	v_add_f32_e32 v85, v1, v74
	v_fmac_f32_e32 v81, 0x3f167918, v84
	s_delay_alu instid0(VALU_DEP_2) | instskip(NEXT) | instid1(VALU_DEP_2)
	v_dual_mul_f32 v4, 0xbf4f1bbd, v10 :: v_dual_add_f32 v1, v85, v87
	v_fmac_f32_e32 v81, 0x3e9e377a, v5
	v_mul_f32_e32 v5, 0xbf4f1bbd, v11
	s_delay_alu instid0(VALU_DEP_3) | instskip(SKIP_3) | instid1(VALU_DEP_2)
	v_fmac_f32_e32 v4, 0x3f167918, v11
	ds_store_2addr_b64 v221, v[0:1], v[2:3] offset1:10
	v_dual_add_f32 v2, v57, v76 :: v_dual_add_f32 v3, v50, v74
	v_dual_sub_f32 v0, v63, v57 :: v_dual_fmac_f32 v5, 0xbf167918, v10
	v_fma_f32 v8, -0.5, v2, v8
	s_delay_alu instid0(VALU_DEP_3)
	v_fmac_f32_e32 v9, -0.5, v3
	v_sub_f32_e32 v1, v67, v76
	v_sub_f32_e32 v3, v65, v72
	v_add_f32_e32 v2, v51, v72
	v_fmamk_f32 v57, v79, 0xbf737871, v8
	v_fmac_f32_e32 v8, 0x3f737871, v79
	v_dual_add_f32 v0, v0, v1 :: v_dual_sub_f32 v1, v62, v50
	s_delay_alu instid0(VALU_DEP_3) | instskip(NEXT) | instid1(VALU_DEP_3)
	v_dual_sub_f32 v50, v66, v74 :: v_dual_fmac_f32 v57, 0x3f167918, v60
	v_dual_fmac_f32 v8, 0xbf167918, v60 :: v_dual_fmac_f32 v47, -0.5, v2
	s_delay_alu instid0(VALU_DEP_2) | instskip(NEXT) | instid1(VALU_DEP_2)
	v_dual_sub_f32 v2, v64, v77 :: v_dual_fmac_f32 v57, 0x3e9e377a, v0
	v_fmac_f32_e32 v8, 0x3e9e377a, v0
	s_delay_alu instid0(VALU_DEP_4) | instskip(SKIP_1) | instid1(VALU_DEP_1)
	v_add_f32_e32 v0, v1, v50
	v_dual_fmamk_f32 v50, v84, 0x3f737871, v9 :: v_dual_sub_f32 v1, v61, v51
	v_fmac_f32_e32 v50, 0xbf167918, v82
	v_fmac_f32_e32 v9, 0xbf737871, v84
	s_delay_alu instid0(VALU_DEP_2) | instskip(NEXT) | instid1(VALU_DEP_2)
	v_fmac_f32_e32 v50, 0x3e9e377a, v0
	v_fmac_f32_e32 v9, 0x3f167918, v82
	s_delay_alu instid0(VALU_DEP_1) | instskip(SKIP_3) | instid1(VALU_DEP_2)
	v_dual_fmac_f32 v9, 0x3e9e377a, v0 :: v_dual_add_f32 v0, v1, v3
	v_fmamk_f32 v3, v46, 0xbf737871, v47
	v_add_f32_e32 v1, v49, v77
	v_fmac_f32_e32 v47, 0x3f737871, v46
	v_dual_fmac_f32 v3, 0x3f167918, v14 :: v_dual_fmac_f32 v48, -0.5, v1
	v_sub_f32_e32 v1, v58, v49
	s_delay_alu instid0(VALU_DEP_3) | instskip(NEXT) | instid1(VALU_DEP_3)
	v_fmac_f32_e32 v47, 0xbf167918, v14
	v_fmac_f32_e32 v3, 0x3e9e377a, v0
	s_delay_alu instid0(VALU_DEP_2) | instskip(SKIP_2) | instid1(VALU_DEP_3)
	v_dual_fmac_f32 v47, 0x3e9e377a, v0 :: v_dual_add_f32 v0, v1, v2
	v_fmamk_f32 v1, v13, 0x3f737871, v48
	v_fmac_f32_e32 v48, 0xbf737871, v13
	v_mul_f32_e32 v58, 0xbe9e377a, v47
	s_delay_alu instid0(VALU_DEP_3) | instskip(NEXT) | instid1(VALU_DEP_3)
	v_fmac_f32_e32 v1, 0xbf167918, v12
	v_fmac_f32_e32 v48, 0x3f167918, v12
	s_delay_alu instid0(VALU_DEP_2) | instskip(NEXT) | instid1(VALU_DEP_2)
	v_fmac_f32_e32 v1, 0x3e9e377a, v0
	v_fmac_f32_e32 v48, 0x3e9e377a, v0
	s_delay_alu instid0(VALU_DEP_1) | instskip(SKIP_1) | instid1(VALU_DEP_2)
	v_dual_mul_f32 v49, 0x3f737871, v1 :: v_dual_fmac_f32 v58, 0x3f737871, v48
	v_mul_f32_e32 v48, 0xbe9e377a, v48
	v_dual_add_f32 v2, v8, v58 :: v_dual_mul_f32 v51, 0xbf737871, v3
	s_delay_alu instid0(VALU_DEP_3) | instskip(NEXT) | instid1(VALU_DEP_3)
	v_fmac_f32_e32 v49, 0x3e9e377a, v3
	v_fmac_f32_e32 v48, 0xbf737871, v47
	s_delay_alu instid0(VALU_DEP_3) | instskip(NEXT) | instid1(VALU_DEP_3)
	v_fmac_f32_e32 v51, 0x3e9e377a, v1
	v_add_f32_e32 v0, v57, v49
	s_delay_alu instid0(VALU_DEP_3) | instskip(NEXT) | instid1(VALU_DEP_3)
	v_add_f32_e32 v3, v9, v48
	v_add_f32_e32 v1, v50, v51
	ds_store_2addr_b64 v221, v[0:1], v[2:3] offset0:20 offset1:30
	v_dual_sub_f32 v0, v80, v86 :: v_dual_sub_f32 v1, v85, v87
	v_dual_add_f32 v2, v59, v4 :: v_dual_add_f32 v3, v81, v5
	ds_store_2addr_b64 v221, v[2:3], v[0:1] offset0:40 offset1:50
	v_dual_sub_f32 v0, v78, v73 :: v_dual_sub_f32 v1, v83, v75
	v_dual_sub_f32 v2, v57, v49 :: v_dual_sub_f32 v3, v50, v51
	ds_store_2addr_b64 v221, v[0:1], v[2:3] offset0:60 offset1:70
	v_dual_sub_f32 v1, v9, v48 :: v_dual_sub_f32 v0, v8, v58
	v_dual_sub_f32 v2, v59, v4 :: v_dual_sub_f32 v3, v81, v5
	ds_store_2addr_b64 v221, v[0:1], v[2:3] offset0:80 offset1:90
	v_mul_lo_u16 v0, v45, 41
	v_add_nc_u32_e32 v1, 0xffffff9c, v138
	s_waitcnt lgkmcnt(0)
	s_waitcnt_vscnt null, 0x0
	s_barrier
	buffer_gl0_inv
	v_lshrrev_b16 v93, 12, v0
	v_cndmask_b32_e32 v141, v1, v138, vcc_lo
	s_delay_alu instid0(VALU_DEP_2) | instskip(NEXT) | instid1(VALU_DEP_2)
	v_mul_lo_u16 v0, 0x64, v93
	v_mul_i32_i24_e32 v1, 40, v141
	v_mul_hi_i32_i24_e32 v2, 40, v141
	s_delay_alu instid0(VALU_DEP_3) | instskip(NEXT) | instid1(VALU_DEP_3)
	v_sub_nc_u16 v0, v44, v0
	v_add_co_u32 v5, vcc_lo, s10, v1
	s_delay_alu instid0(VALU_DEP_3) | instskip(NEXT) | instid1(VALU_DEP_3)
	v_add_co_ci_u32_e32 v6, vcc_lo, s11, v2, vcc_lo
	v_and_b32_e32 v100, 0xff, v0
	ds_load_2addr_b64 v[0:3], v180 offset0:48 offset1:168
	v_cmp_lt_u16_e32 vcc_lo, 0x63, v92
	s_clause 0x1
	global_load_b128 v[204:207], v[5:6], off offset:720
	global_load_b128 v[48:51], v[5:6], off offset:736
	v_mad_u64_u32 v[7:8], null, v100, 40, s[10:11]
	s_clause 0x1
	global_load_b128 v[44:47], v[7:8], off offset:720
	global_load_b128 v[60:63], v[7:8], off offset:736
	s_waitcnt vmcnt(3) lgkmcnt(0)
	v_mul_f32_e32 v4, v1, v207
	v_mul_f32_e32 v12, v0, v207
	s_delay_alu instid0(VALU_DEP_2) | instskip(NEXT) | instid1(VALU_DEP_2)
	v_fma_f32 v11, v0, v206, -v4
	v_fmac_f32_e32 v12, v1, v206
	s_waitcnt vmcnt(1)
	v_mul_f32_e32 v0, v3, v47
	v_mul_f32_e32 v14, v2, v47
	s_delay_alu instid0(VALU_DEP_2) | instskip(NEXT) | instid1(VALU_DEP_2)
	v_fma_f32 v0, v2, v46, -v0
	v_fmac_f32_e32 v14, v3, v46
	ds_load_2addr_b64 v[1:4], v191 offset0:96 offset1:216
	s_waitcnt lgkmcnt(0)
	v_mul_f32_e32 v9, v2, v51
	v_mul_f32_e32 v65, v1, v51
	s_waitcnt vmcnt(0)
	v_mul_f32_e32 v142, v3, v63
	s_delay_alu instid0(VALU_DEP_3) | instskip(SKIP_2) | instid1(VALU_DEP_4)
	v_fma_f32 v64, v1, v50, -v9
	v_mul_f32_e32 v1, v4, v63
	v_fmac_f32_e32 v65, v2, v50
	v_fmac_f32_e32 v142, v4, v62
	s_delay_alu instid0(VALU_DEP_3) | instskip(SKIP_1) | instid1(VALU_DEP_1)
	v_fma_f32 v143, v3, v62, -v1
	v_lshrrev_b16 v1, 2, v56
	v_and_b32_e32 v1, 0xffff, v1
	s_delay_alu instid0(VALU_DEP_1) | instskip(NEXT) | instid1(VALU_DEP_1)
	v_mul_u32_u24_e32 v1, 0x147b, v1
	v_lshrrev_b32_e32 v115, 17, v1
	s_delay_alu instid0(VALU_DEP_1) | instskip(NEXT) | instid1(VALU_DEP_1)
	v_mul_lo_u16 v1, 0x64, v115
	v_sub_nc_u16 v116, v56, v1
	s_delay_alu instid0(VALU_DEP_1) | instskip(NEXT) | instid1(VALU_DEP_1)
	v_mul_lo_u16 v1, v116, 40
	v_and_b32_e32 v1, 0xffff, v1
	s_delay_alu instid0(VALU_DEP_1) | instskip(NEXT) | instid1(VALU_DEP_1)
	v_add_co_u32 v9, s8, s10, v1
	v_add_co_ci_u32_e64 v10, null, s11, 0, s8
	ds_load_2addr_b64 v[1:4], v192 offset0:80 offset1:200
	s_clause 0x1
	global_load_b128 v[56:59], v[9:10], off offset:720
	global_load_b128 v[72:75], v[9:10], off offset:736
	s_waitcnt lgkmcnt(0)
	v_mul_f32_e32 v13, v2, v45
	v_mul_f32_e32 v128, v1, v45
	s_delay_alu instid0(VALU_DEP_2) | instskip(SKIP_1) | instid1(VALU_DEP_2)
	v_fma_f32 v127, v1, v44, -v13
	s_waitcnt vmcnt(1)
	v_dual_fmac_f32 v128, v2, v44 :: v_dual_mul_f32 v1, v4, v57
	v_mul_f32_e32 v114, v3, v57
	s_delay_alu instid0(VALU_DEP_2) | instskip(NEXT) | instid1(VALU_DEP_2)
	v_fma_f32 v112, v3, v56, -v1
	v_fmac_f32_e32 v114, v4, v56
	ds_load_2addr_b64 v[1:4], v184 offset0:128 offset1:248
	s_clause 0x2
	global_load_b64 v[233:234], v[7:8], off offset:752
	global_load_b64 v[237:238], v[9:10], off offset:752
	;; [unrolled: 1-line block ×3, first 2 shown]
	s_waitcnt lgkmcnt(0)
	v_mul_f32_e32 v13, v2, v61
	v_mul_f32_e32 v144, v1, v61
	s_waitcnt vmcnt(3)
	v_mul_f32_e32 v123, v3, v73
	s_delay_alu instid0(VALU_DEP_3) | instskip(NEXT) | instid1(VALU_DEP_3)
	v_fma_f32 v145, v1, v60, -v13
	v_dual_mul_f32 v1, v4, v73 :: v_dual_fmac_f32 v144, v2, v60
	s_delay_alu instid0(VALU_DEP_3) | instskip(NEXT) | instid1(VALU_DEP_2)
	v_fmac_f32_e32 v123, v4, v72
	v_fma_f32 v124, v3, v72, -v1
	ds_load_2addr_b64 v[1:4], v248 offset0:48 offset1:168
	s_waitcnt vmcnt(2) lgkmcnt(0)
	v_mul_f32_e32 v7, v2, v234
	v_mul_f32_e32 v146, v1, v234
	s_waitcnt vmcnt(1)
	v_mul_f32_e32 v125, v3, v238
	s_delay_alu instid0(VALU_DEP_3) | instskip(NEXT) | instid1(VALU_DEP_3)
	v_fma_f32 v147, v1, v233, -v7
	v_dual_mul_f32 v1, v4, v238 :: v_dual_fmac_f32 v146, v2, v233
	s_delay_alu instid0(VALU_DEP_3) | instskip(NEXT) | instid1(VALU_DEP_2)
	v_fmac_f32_e32 v125, v4, v237
	v_fma_f32 v126, v3, v237, -v1
	v_add_nc_u16 v1, v92, 0x168
	s_delay_alu instid0(VALU_DEP_1) | instskip(NEXT) | instid1(VALU_DEP_1)
	v_lshrrev_b16 v2, 2, v1
	v_and_b32_e32 v2, 0xffff, v2
	s_delay_alu instid0(VALU_DEP_1) | instskip(NEXT) | instid1(VALU_DEP_1)
	v_mul_u32_u24_e32 v2, 0x147b, v2
	v_lshrrev_b32_e32 v110, 17, v2
	s_delay_alu instid0(VALU_DEP_1) | instskip(NEXT) | instid1(VALU_DEP_1)
	v_mul_lo_u16 v2, 0x64, v110
	v_sub_nc_u16 v113, v1, v2
	s_delay_alu instid0(VALU_DEP_1) | instskip(NEXT) | instid1(VALU_DEP_1)
	v_mul_lo_u16 v1, v113, 40
	v_and_b32_e32 v1, 0xffff, v1
	s_delay_alu instid0(VALU_DEP_1) | instskip(NEXT) | instid1(VALU_DEP_1)
	v_add_co_u32 v7, s8, s10, v1
	v_add_co_ci_u32_e64 v8, null, s11, 0, s8
	ds_load_2addr_b64 v[1:4], v186 offset0:32 offset1:152
	s_clause 0x1
	global_load_b128 v[76:79], v[7:8], off offset:720
	global_load_b128 v[88:91], v[7:8], off offset:736
	s_waitcnt lgkmcnt(0)
	v_mul_f32_e32 v9, v2, v59
	v_mul_f32_e32 v130, v1, v59
	s_delay_alu instid0(VALU_DEP_2) | instskip(SKIP_1) | instid1(VALU_DEP_2)
	v_fma_f32 v129, v1, v58, -v9
	s_waitcnt vmcnt(1)
	v_dual_fmac_f32 v130, v2, v58 :: v_dual_mul_f32 v1, v4, v79
	v_mul_f32_e32 v117, v3, v79
	s_delay_alu instid0(VALU_DEP_2) | instskip(NEXT) | instid1(VALU_DEP_2)
	v_fma_f32 v118, v3, v78, -v1
	v_fmac_f32_e32 v117, v4, v78
	ds_load_2addr_b64 v[1:4], v182 offset0:80 offset1:200
	s_waitcnt lgkmcnt(0)
	v_mul_f32_e32 v9, v2, v75
	v_mul_f32_e32 v13, v1, v75
	s_waitcnt vmcnt(0)
	v_mul_f32_e32 v121, v3, v91
	s_delay_alu instid0(VALU_DEP_3) | instskip(SKIP_2) | instid1(VALU_DEP_4)
	v_fma_f32 v138, v1, v74, -v9
	v_mul_f32_e32 v1, v4, v91
	v_fmac_f32_e32 v13, v2, v74
	v_fmac_f32_e32 v121, v4, v90
	s_delay_alu instid0(VALU_DEP_3) | instskip(SKIP_1) | instid1(VALU_DEP_1)
	v_fma_f32 v122, v3, v90, -v1
	v_add_nc_u16 v1, v92, 0x1e0
	v_lshrrev_b16 v2, 2, v1
	s_delay_alu instid0(VALU_DEP_1) | instskip(NEXT) | instid1(VALU_DEP_1)
	v_and_b32_e32 v2, 0xffff, v2
	v_mul_u32_u24_e32 v2, 0x147b, v2
	s_delay_alu instid0(VALU_DEP_1) | instskip(NEXT) | instid1(VALU_DEP_1)
	v_lshrrev_b32_e32 v96, 17, v2
	v_mul_lo_u16 v2, 0x64, v96
	s_delay_alu instid0(VALU_DEP_1) | instskip(NEXT) | instid1(VALU_DEP_1)
	v_sub_nc_u16 v97, v1, v2
	v_mul_lo_u16 v1, v97, 40
	s_delay_alu instid0(VALU_DEP_1) | instskip(NEXT) | instid1(VALU_DEP_1)
	v_and_b32_e32 v1, 0xffff, v1
	v_add_co_u32 v9, s8, s10, v1
	s_delay_alu instid0(VALU_DEP_1)
	v_add_co_ci_u32_e64 v10, null, s11, 0, s8
	ds_load_2addr_b64 v[1:4], v188 offset0:64 offset1:184
	s_clause 0x1
	global_load_b128 v[84:87], v[9:10], off offset:720
	global_load_b128 v[104:107], v[9:10], off offset:736
	s_waitcnt lgkmcnt(0)
	v_mul_f32_e32 v66, v2, v77
	v_mul_f32_e32 v120, v1, v77
	s_delay_alu instid0(VALU_DEP_2) | instskip(SKIP_1) | instid1(VALU_DEP_2)
	v_fma_f32 v119, v1, v76, -v66
	s_waitcnt vmcnt(1)
	v_dual_fmac_f32 v120, v2, v76 :: v_dual_mul_f32 v1, v4, v85
	v_mul_f32_e32 v95, v3, v85
	s_delay_alu instid0(VALU_DEP_2) | instskip(NEXT) | instid1(VALU_DEP_2)
	v_fma_f32 v94, v3, v84, -v1
	v_fmac_f32_e32 v95, v4, v84
	ds_load_2addr_b64 v[1:4], v187 offset0:16 offset1:136
	s_waitcnt lgkmcnt(0)
	v_mul_f32_e32 v66, v4, v49
	v_dual_mul_f32 v149, v3, v49 :: v_dual_mul_f32 v98, v1, v87
	s_delay_alu instid0(VALU_DEP_2) | instskip(SKIP_1) | instid1(VALU_DEP_3)
	v_fma_f32 v148, v3, v48, -v66
	v_mul_f32_e32 v3, v2, v87
	v_dual_fmac_f32 v149, v4, v48 :: v_dual_fmac_f32 v98, v2, v86
	s_delay_alu instid0(VALU_DEP_2)
	v_fma_f32 v99, v1, v86, -v3
	ds_load_2addr_b64 v[1:4], v190 offset0:112 offset1:232
	s_waitcnt lgkmcnt(0)
	v_mul_f32_e32 v66, v2, v89
	v_mul_f32_e32 v131, v1, v89
	s_waitcnt vmcnt(0)
	v_mul_f32_e32 v101, v3, v105
	s_delay_alu instid0(VALU_DEP_3) | instskip(SKIP_2) | instid1(VALU_DEP_4)
	v_fma_f32 v137, v1, v88, -v66
	v_mul_f32_e32 v1, v4, v105
	v_fmac_f32_e32 v131, v2, v88
	v_fmac_f32_e32 v101, v4, v104
	s_delay_alu instid0(VALU_DEP_3)
	v_fma_f32 v102, v3, v104, -v1
	ds_load_2addr_b64 v[1:4], v189 offset0:64 offset1:184
	s_clause 0x1
	global_load_b64 v[227:228], v[7:8], off offset:752
	global_load_b64 v[229:230], v[9:10], off offset:752
	ds_load_2addr_b64 v[80:83], v19 offset1:120
	v_sub_f32_e32 v10, v12, v65
	s_waitcnt lgkmcnt(1)
	v_mul_f32_e32 v5, v4, v232
	v_dual_mul_f32 v6, v3, v232 :: v_dual_mul_f32 v103, v1, v107
	s_delay_alu instid0(VALU_DEP_2) | instskip(SKIP_1) | instid1(VALU_DEP_3)
	v_fma_f32 v5, v3, v231, -v5
	v_mul_f32_e32 v3, v2, v107
	v_dual_fmac_f32 v6, v4, v231 :: v_dual_fmac_f32 v103, v2, v106
	s_delay_alu instid0(VALU_DEP_2)
	v_fma_f32 v108, v1, v106, -v3
	ds_load_2addr_b64 v[1:4], v181 offset0:32 offset1:152
	s_waitcnt vmcnt(1) lgkmcnt(0)
	v_mul_f32_e32 v7, v2, v228
	v_mul_f32_e32 v139, v1, v228
	s_waitcnt vmcnt(0)
	v_mul_f32_e32 v109, v3, v230
	s_delay_alu instid0(VALU_DEP_3)
	v_fma_f32 v140, v1, v227, -v7
	v_mul_f32_e32 v1, v4, v230
	v_fmac_f32_e32 v139, v2, v227
	v_add_f32_e32 v2, v80, v11
	v_fmac_f32_e32 v109, v4, v229
	v_add_f32_e32 v7, v148, v5
	v_fma_f32 v111, v3, v229, -v1
	v_add_f32_e32 v1, v81, v12
	v_add_f32_e32 v3, v149, v6
	s_delay_alu instid0(VALU_DEP_2)
	v_add_f32_e32 v9, v1, v65
	v_dual_add_f32 v1, v12, v65 :: v_dual_add_f32 v12, v2, v64
	v_add_f32_e32 v2, v11, v64
	v_sub_f32_e32 v11, v11, v64
	ds_load_2addr_b64 v[64:67], v247 offset0:96 offset1:216
	v_fma_f32 v81, -0.5, v1, v81
	v_fma_f32 v80, -0.5, v2, v80
	s_delay_alu instid0(VALU_DEP_2) | instskip(SKIP_2) | instid1(VALU_DEP_1)
	v_fmamk_f32 v153, v11, 0xbf5db3d7, v81
	s_waitcnt lgkmcnt(0)
	v_dual_fmac_f32 v81, 0x3f5db3d7, v11 :: v_dual_mul_f32 v150, v66, v205
	v_fmac_f32_e32 v150, v67, v204
	s_delay_alu instid0(VALU_DEP_1) | instskip(SKIP_3) | instid1(VALU_DEP_4)
	v_add_f32_e32 v4, v150, v149
	v_dual_fmac_f32 v150, -0.5, v3 :: v_dual_mul_f32 v3, v67, v205
	v_sub_f32_e32 v149, v149, v6
	v_sub_f32_e32 v67, v148, v5
	v_add_f32_e32 v151, v4, v6
	s_delay_alu instid0(VALU_DEP_4) | instskip(NEXT) | instid1(VALU_DEP_1)
	v_fma_f32 v66, v66, v204, -v3
	v_dual_add_f32 v6, v9, v151 :: v_dual_add_f32 v3, v66, v148
	v_fmac_f32_e32 v66, -0.5, v7
	s_delay_alu instid0(VALU_DEP_2) | instskip(NEXT) | instid1(VALU_DEP_2)
	v_add_f32_e32 v148, v3, v5
	v_fmamk_f32 v4, v149, 0x3f5db3d7, v66
	v_fmamk_f32 v3, v67, 0xbf5db3d7, v150
	v_fmac_f32_e32 v66, 0xbf5db3d7, v149
	v_dual_fmac_f32 v150, 0x3f5db3d7, v67 :: v_dual_sub_f32 v67, v144, v146
	s_delay_alu instid0(VALU_DEP_4) | instskip(NEXT) | instid1(VALU_DEP_4)
	v_mul_f32_e32 v152, 0xbf5db3d7, v4
	v_mul_f32_e32 v92, 0x3f5db3d7, v3
	s_delay_alu instid0(VALU_DEP_2) | instskip(SKIP_1) | instid1(VALU_DEP_3)
	v_fmac_f32_e32 v152, 0.5, v3
	v_cndmask_b32_e64 v3, 0, 0x258, vcc_lo
	v_fmac_f32_e32 v92, 0.5, v4
	s_delay_alu instid0(VALU_DEP_3) | instskip(NEXT) | instid1(VALU_DEP_3)
	v_add_f32_e32 v8, v153, v152
	v_add_lshl_u32 v16, v141, v3, 3
	v_fmamk_f32 v141, v10, 0x3f5db3d7, v80
	ds_load_2addr_b64 v[1:4], v255 offset0:112 offset1:232
	v_dual_add_f32 v5, v12, v148 :: v_dual_fmac_f32 v80, 0xbf5db3d7, v10
	scratch_store_b32 off, v16, off offset:256 ; 4-byte Folded Spill
	v_add_f32_e32 v7, v141, v92
	s_waitcnt lgkmcnt(0)
	s_waitcnt_vscnt null, 0x0
	s_barrier
	buffer_gl0_inv
	v_mul_f32_e32 v10, -0.5, v150
	ds_store_2addr_b64 v16, v[5:6], v[7:8] offset1:100
	v_dual_sub_f32 v6, v9, v151 :: v_dual_mul_f32 v9, -0.5, v66
	v_dual_sub_f32 v5, v12, v148 :: v_dual_fmac_f32 v10, 0xbf5db3d7, v66
	v_add_nc_u32_e32 v11, 0x400, v16
	s_delay_alu instid0(VALU_DEP_3) | instskip(NEXT) | instid1(VALU_DEP_1)
	v_fmac_f32_e32 v9, 0x3f5db3d7, v150
	v_dual_add_f32 v8, v81, v10 :: v_dual_add_f32 v7, v80, v9
	ds_store_2addr_b64 v11, v[7:8], v[5:6] offset0:72 offset1:172
	v_sub_f32_e32 v5, v141, v92
	v_dual_sub_f32 v6, v153, v152 :: v_dual_sub_f32 v7, v80, v9
	v_dual_sub_f32 v8, v81, v10 :: v_dual_add_nc_u32 v9, 0x800, v16
	scratch_store_b32 off, v11, off offset:248 ; 4-byte Folded Spill
	v_sub_f32_e32 v11, v14, v142
	ds_store_2addr_b64 v9, v[5:6], v[7:8] offset0:144 offset1:244
	v_add_f32_e32 v5, v14, v142
	v_add_f32_e32 v6, v83, v14
	v_dual_add_f32 v7, v127, v145 :: v_dual_add_f32 v8, v128, v144
	s_delay_alu instid0(VALU_DEP_3) | instskip(NEXT) | instid1(VALU_DEP_3)
	v_dual_sub_f32 v14, v145, v147 :: v_dual_fmac_f32 v83, -0.5, v5
	v_dual_add_f32 v5, v145, v147 :: v_dual_add_f32 v12, v6, v142
	scratch_store_b32 off, v9, off offset:252 ; 4-byte Folded Spill
	v_sub_f32_e32 v9, v0, v143
	v_dual_add_f32 v66, v7, v147 :: v_dual_fmac_f32 v127, -0.5, v5
	v_add_f32_e32 v5, v144, v146
	v_add_f32_e32 v80, v8, v146
	s_delay_alu instid0(VALU_DEP_3) | instskip(NEXT) | instid1(VALU_DEP_3)
	v_fmamk_f32 v6, v67, 0x3f5db3d7, v127
	v_dual_fmac_f32 v128, -0.5, v5 :: v_dual_add_f32 v5, v82, v0
	v_add_f32_e32 v0, v0, v143
	s_delay_alu instid0(VALU_DEP_3) | instskip(NEXT) | instid1(VALU_DEP_3)
	v_dual_fmac_f32 v127, 0xbf5db3d7, v67 :: v_dual_mul_f32 v92, 0xbf5db3d7, v6
	v_dual_add_f32 v10, v5, v143 :: v_dual_fmamk_f32 v5, v14, 0xbf5db3d7, v128
	s_delay_alu instid0(VALU_DEP_3) | instskip(NEXT) | instid1(VALU_DEP_2)
	v_fma_f32 v0, -0.5, v0, v82
	v_dual_fmac_f32 v128, 0x3f5db3d7, v14 :: v_dual_mul_f32 v81, 0x3f5db3d7, v5
	s_delay_alu instid0(VALU_DEP_4) | instskip(SKIP_1) | instid1(VALU_DEP_4)
	v_fmac_f32_e32 v92, 0.5, v5
	v_and_b32_e32 v5, 0xffff, v93
	v_fmamk_f32 v82, v11, 0x3f5db3d7, v0
	v_fmamk_f32 v93, v9, 0xbf5db3d7, v83
	v_dual_fmac_f32 v81, 0.5, v6 :: v_dual_add_f32 v6, v12, v80
	s_delay_alu instid0(VALU_DEP_4) | instskip(NEXT) | instid1(VALU_DEP_3)
	v_mul_u32_u24_e32 v5, 0x258, v5
	v_dual_fmac_f32 v83, 0x3f5db3d7, v9 :: v_dual_add_f32 v8, v93, v92
	s_delay_alu instid0(VALU_DEP_3) | instskip(SKIP_1) | instid1(VALU_DEP_4)
	v_add_f32_e32 v7, v82, v81
	v_mul_f32_e32 v9, -0.5, v128
	v_add_lshl_u32 v16, v5, v100, 3
	v_dual_add_f32 v5, v10, v66 :: v_dual_fmac_f32 v0, 0xbf5db3d7, v11
	s_delay_alu instid0(VALU_DEP_3) | instskip(NEXT) | instid1(VALU_DEP_3)
	v_fmac_f32_e32 v9, 0xbf5db3d7, v127
	v_add_nc_u32_e32 v11, 0x400, v16
	ds_store_2addr_b64 v16, v[5:6], v[7:8] offset1:100
	v_dual_sub_f32 v5, v10, v66 :: v_dual_mul_f32 v10, -0.5, v127
	v_sub_f32_e32 v6, v12, v80
	v_add_f32_e32 v8, v83, v9
	s_clause 0x1
	scratch_store_b32 off, v11, off offset:276
	scratch_store_b32 off, v16, off offset:288
	v_sub_f32_e32 v66, v123, v125
	v_fmac_f32_e32 v10, 0x3f5db3d7, v128
	v_add_f32_e32 v12, v129, v138
	s_delay_alu instid0(VALU_DEP_2) | instskip(NEXT) | instid1(VALU_DEP_2)
	v_add_f32_e32 v7, v0, v10
	v_fma_f32 v12, -0.5, v12, v1
	ds_store_2addr_b64 v11, v[7:8], v[5:6] offset0:72 offset1:172
	v_dual_sub_f32 v6, v83, v9 :: v_dual_sub_f32 v5, v0, v10
	v_dual_sub_f32 v7, v82, v81 :: v_dual_sub_f32 v8, v93, v92
	v_add_nc_u32_e32 v0, 0x800, v16
	v_sub_f32_e32 v10, v130, v13
	v_add_f32_e32 v11, v1, v129
	scratch_store_b32 off, v0, off offset:268 ; 4-byte Folded Spill
	ds_store_2addr_b64 v0, v[7:8], v[5:6] offset0:144 offset1:244
	v_dual_add_f32 v0, v123, v125 :: v_dual_add_f32 v5, v114, v123
	v_sub_f32_e32 v8, v124, v126
	v_add_f32_e32 v6, v2, v130
	s_delay_alu instid0(VALU_DEP_3) | instskip(SKIP_2) | instid1(VALU_DEP_4)
	v_dual_add_f32 v11, v11, v138 :: v_dual_fmac_f32 v114, -0.5, v0
	v_add_f32_e32 v0, v112, v124
	v_add_f32_e32 v14, v5, v125
	;; [unrolled: 1-line block ×3, first 2 shown]
	v_dual_add_f32 v6, v130, v13 :: v_dual_sub_f32 v13, v129, v138
	s_delay_alu instid0(VALU_DEP_4) | instskip(SKIP_2) | instid1(VALU_DEP_4)
	v_add_f32_e32 v7, v0, v126
	v_add_f32_e32 v0, v124, v126
	v_fmamk_f32 v82, v10, 0x3f5db3d7, v12
	v_fma_f32 v2, -0.5, v6, v2
	v_add_f32_e32 v1, v9, v14
	v_fmac_f32_e32 v12, 0xbf5db3d7, v10
	v_fmac_f32_e32 v112, -0.5, v0
	v_fmamk_f32 v0, v8, 0xbf5db3d7, v114
	v_fmamk_f32 v83, v13, 0xbf5db3d7, v2
	v_fmac_f32_e32 v114, 0x3f5db3d7, v8
	v_fmac_f32_e32 v2, 0x3f5db3d7, v13
	v_fmamk_f32 v5, v66, 0x3f5db3d7, v112
	v_mul_f32_e32 v67, 0x3f5db3d7, v0
	v_fmac_f32_e32 v112, 0xbf5db3d7, v66
	v_dual_mul_f32 v8, -0.5, v114 :: v_dual_sub_f32 v13, v131, v139
	s_delay_alu instid0(VALU_DEP_4) | instskip(NEXT) | instid1(VALU_DEP_4)
	v_mul_f32_e32 v80, 0xbf5db3d7, v5
	v_fmac_f32_e32 v67, 0.5, v5
	v_mad_u16 v5, 0x258, v115, v116
	s_delay_alu instid0(VALU_DEP_4) | instskip(NEXT) | instid1(VALU_DEP_4)
	v_fmac_f32_e32 v8, 0xbf5db3d7, v112
	v_fmac_f32_e32 v80, 0.5, v0
	s_delay_alu instid0(VALU_DEP_3) | instskip(NEXT) | instid1(VALU_DEP_2)
	v_dual_add_f32 v0, v11, v7 :: v_dual_and_b32 v81, 0xffff, v5
	v_dual_add_f32 v5, v82, v67 :: v_dual_add_f32 v6, v83, v80
	s_delay_alu instid0(VALU_DEP_2)
	v_lshlrev_b32_e32 v16, 3, v81
	ds_store_2addr_b64 v16, v[0:1], v[5:6] offset1:100
	v_dual_sub_f32 v0, v11, v7 :: v_dual_mul_f32 v7, -0.5, v112
	v_dual_sub_f32 v1, v9, v14 :: v_dual_add_f32 v6, v2, v8
	v_add_nc_u32_e32 v9, 0x400, v16
	v_sub_f32_e32 v11, v137, v140
	s_delay_alu instid0(VALU_DEP_4) | instskip(NEXT) | instid1(VALU_DEP_1)
	v_fmac_f32_e32 v7, 0x3f5db3d7, v114
	v_add_f32_e32 v5, v12, v7
	ds_store_2addr_b64 v9, v[5:6], v[0:1] offset0:72 offset1:172
	v_dual_sub_f32 v0, v82, v67 :: v_dual_sub_f32 v1, v83, v80
	v_dual_sub_f32 v5, v12, v7 :: v_dual_sub_f32 v6, v2, v8
	v_add_nc_u32_e32 v2, 0x800, v16
	s_clause 0x1
	scratch_store_b32 off, v16, off offset:284
	scratch_store_b32 off, v9, off offset:272
	v_add_f32_e32 v7, v118, v122
	v_sub_f32_e32 v9, v117, v121
	ds_store_2addr_b64 v2, v[0:1], v[5:6] offset0:144 offset1:244
	v_add_f32_e32 v0, v117, v121
	v_add_f32_e32 v1, v4, v117
	scratch_store_b32 off, v2, off offset:264 ; 4-byte Folded Spill
	v_dual_add_f32 v2, v119, v137 :: v_dual_add_f32 v5, v120, v131
	v_fmac_f32_e32 v4, -0.5, v0
	v_add_f32_e32 v0, v137, v140
	v_add_f32_e32 v10, v1, v121
	v_sub_f32_e32 v6, v118, v122
	v_add_f32_e32 v12, v2, v140
	v_mad_u16 v2, 0x258, v110, v113
	v_dual_fmac_f32 v119, -0.5, v0 :: v_dual_add_f32 v0, v131, v139
	v_fma_f32 v7, -0.5, v7, v3
	v_add_f32_e32 v5, v5, v139
	s_delay_alu instid0(VALU_DEP_4) | instskip(NEXT) | instid1(VALU_DEP_4)
	v_and_b32_e32 v67, 0xffff, v2
	v_dual_fmamk_f32 v1, v13, 0x3f5db3d7, v119 :: v_dual_fmac_f32 v120, -0.5, v0
	v_add_f32_e32 v0, v3, v118
	v_fmamk_f32 v80, v9, 0x3f5db3d7, v7
	s_delay_alu instid0(VALU_DEP_3) | instskip(SKIP_1) | instid1(VALU_DEP_4)
	v_dual_fmamk_f32 v81, v6, 0xbf5db3d7, v4 :: v_dual_mul_f32 v66, 0xbf5db3d7, v1
	v_lshlrev_b32_e32 v16, 3, v67
	v_add_f32_e32 v8, v0, v122
	v_fmamk_f32 v0, v11, 0xbf5db3d7, v120
	v_fmac_f32_e32 v120, 0x3f5db3d7, v11
	v_fmac_f32_e32 v119, 0xbf5db3d7, v13
	v_fmac_f32_e32 v7, 0xbf5db3d7, v9
	s_delay_alu instid0(VALU_DEP_4)
	v_dual_sub_f32 v9, v102, v111 :: v_dual_mul_f32 v14, 0x3f5db3d7, v0
	v_fmac_f32_e32 v66, 0.5, v0
	v_add_f32_e32 v0, v8, v12
	v_fmac_f32_e32 v4, 0x3f5db3d7, v6
	v_mul_f32_e32 v6, -0.5, v119
	v_fmac_f32_e32 v14, 0.5, v1
	v_add_f32_e32 v1, v10, v5
	v_add_f32_e32 v3, v81, v66
	s_delay_alu instid0(VALU_DEP_4) | instskip(NEXT) | instid1(VALU_DEP_4)
	v_dual_sub_f32 v11, v101, v109 :: v_dual_fmac_f32 v6, 0x3f5db3d7, v120
	v_add_f32_e32 v2, v80, v14
	ds_store_2addr_b64 v16, v[0:1], v[2:3] offset1:100
	v_sub_f32_e32 v1, v10, v5
	v_mul_f32_e32 v5, -0.5, v120
	v_sub_f32_e32 v0, v8, v12
	v_add_f32_e32 v2, v7, v6
	v_add_nc_u32_e32 v8, 0x400, v16
	s_delay_alu instid0(VALU_DEP_4)
	v_fmac_f32_e32 v5, 0xbf5db3d7, v119
	scratch_store_b32 off, v8, off offset:260 ; 4-byte Folded Spill
	v_add_f32_e32 v3, v4, v5
	ds_store_2addr_b64 v8, v[2:3], v[0:1] offset0:72 offset1:172
	v_dual_sub_f32 v1, v4, v5 :: v_dual_sub_f32 v0, v7, v6
	v_sub_f32_e32 v2, v80, v14
	v_dual_sub_f32 v3, v81, v66 :: v_dual_add_nc_u32 v4, 0x800, v16
	v_add_f32_e32 v5, v99, v108
	v_sub_f32_e32 v7, v98, v103
	s_clause 0x1
	scratch_store_b32 off, v16, off offset:280
	scratch_store_b32 off, v4, off offset:300
	ds_store_2addr_b64 v4, v[2:3], v[0:1] offset0:144 offset1:244
	v_add_f32_e32 v0, v98, v103
	v_fma_f32 v5, -0.5, v5, v64
	v_add_f32_e32 v2, v94, v102
	v_sub_f32_e32 v4, v99, v108
	s_delay_alu instid0(VALU_DEP_3) | instskip(SKIP_3) | instid1(VALU_DEP_4)
	v_dual_fmamk_f32 v66, v7, 0x3f5db3d7, v5 :: v_dual_add_f32 v1, v65, v98
	v_dual_fmac_f32 v65, -0.5, v0 :: v_dual_add_f32 v0, v102, v111
	v_fmac_f32_e32 v5, 0xbf5db3d7, v7
	v_add_f32_e32 v10, v2, v111
	v_add_f32_e32 v8, v1, v103
	v_mad_u16 v2, 0x258, v96, v97
	v_fmac_f32_e32 v94, -0.5, v0
	v_dual_add_f32 v0, v101, v109 :: v_dual_fmamk_f32 v67, v4, 0xbf5db3d7, v65
	v_fmac_f32_e32 v65, 0x3f5db3d7, v4
	s_delay_alu instid0(VALU_DEP_3) | instskip(SKIP_1) | instid1(VALU_DEP_4)
	v_fmamk_f32 v1, v11, 0x3f5db3d7, v94
	v_dual_fmac_f32 v94, 0xbf5db3d7, v11 :: v_dual_add_f32 v3, v95, v101
	v_dual_fmac_f32 v95, -0.5, v0 :: v_dual_add_f32 v0, v64, v99
	s_delay_alu instid0(VALU_DEP_3) | instskip(SKIP_1) | instid1(VALU_DEP_4)
	v_mul_f32_e32 v14, 0xbf5db3d7, v1
	v_and_b32_e32 v64, 0xffff, v2
	v_add_f32_e32 v12, v3, v109
	s_delay_alu instid0(VALU_DEP_4) | instskip(SKIP_1) | instid1(VALU_DEP_4)
	v_add_f32_e32 v6, v0, v108
	v_fmamk_f32 v0, v9, 0xbf5db3d7, v95
	v_dual_fmac_f32 v95, 0x3f5db3d7, v9 :: v_dual_lshlrev_b32 v16, 3, v64
	s_delay_alu instid0(VALU_DEP_2) | instskip(SKIP_2) | instid1(VALU_DEP_4)
	v_mul_f32_e32 v13, 0x3f5db3d7, v0
	v_fmac_f32_e32 v14, 0.5, v0
	v_add_f32_e32 v0, v6, v10
	v_dual_mul_f32 v4, -0.5, v95 :: v_dual_add_nc_u32 v7, 0x400, v16
	s_delay_alu instid0(VALU_DEP_4) | instskip(SKIP_2) | instid1(VALU_DEP_4)
	v_fmac_f32_e32 v13, 0.5, v1
	v_add_f32_e32 v1, v8, v12
	v_add_f32_e32 v3, v67, v14
	v_fmac_f32_e32 v4, 0xbf5db3d7, v94
	s_delay_alu instid0(VALU_DEP_4)
	v_add_f32_e32 v2, v66, v13
	ds_store_2addr_b64 v16, v[0:1], v[2:3] offset1:100
	v_sub_f32_e32 v0, v6, v10
	v_dual_mul_f32 v6, -0.5, v94 :: v_dual_sub_f32 v1, v8, v12
	v_add_f32_e32 v3, v65, v4
	v_mad_u64_u32 v[11:12], null, v15, 40, s[10:11]
	s_delay_alu instid0(VALU_DEP_3) | instskip(NEXT) | instid1(VALU_DEP_1)
	v_fmac_f32_e32 v6, 0x3f5db3d7, v95
	v_add_f32_e32 v2, v5, v6
	ds_store_2addr_b64 v7, v[2:3], v[0:1] offset0:72 offset1:172
	v_sub_f32_e32 v1, v65, v4
	v_sub_f32_e32 v0, v5, v6
	v_dual_sub_f32 v2, v66, v13 :: v_dual_sub_f32 v3, v67, v14
	v_add_nc_u32_e32 v4, 0x800, v16
	s_clause 0x1
	scratch_store_b32 off, v16, off offset:304
	scratch_store_b32 off, v7, off offset:296
	v_mov_b32_e32 v16, v182
	ds_store_2addr_b64 v4, v[2:3], v[0:1] offset0:144 offset1:244
	v_add_co_u32 v0, vcc_lo, 0x1000, v11
	v_add_co_ci_u32_e32 v1, vcc_lo, 0, v12, vcc_lo
	scratch_store_b32 off, v4, off offset:292 ; 4-byte Folded Spill
	v_add_co_u32 v4, vcc_lo, 0x2000, v11
	s_waitcnt lgkmcnt(0)
	s_waitcnt_vscnt null, 0x0
	s_barrier
	v_add_co_ci_u32_e32 v5, vcc_lo, 0, v12, vcc_lo
	buffer_gl0_inv
	global_load_b128 v[64:67], v[0:1], off offset:624
	v_add_co_u32 v130, vcc_lo, 0x1270, v11
	global_load_b128 v[80:83], v[4:5], off offset:1328
	ds_load_2addr_b64 v[0:3], v180 offset0:48 offset1:168
	v_add_co_ci_u32_e32 v131, vcc_lo, 0, v12, vcc_lo
	global_load_b128 v[92:95], v[130:131], off offset:16
	s_waitcnt vmcnt(2) lgkmcnt(0)
	v_mul_f32_e32 v6, v1, v67
	v_mul_f32_e32 v164, v0, v67
	s_delay_alu instid0(VALU_DEP_2) | instskip(SKIP_2) | instid1(VALU_DEP_3)
	v_fma_f32 v163, v0, v66, -v6
	s_waitcnt vmcnt(1)
	v_mul_f32_e32 v0, v3, v83
	v_fmac_f32_e32 v164, v1, v66
	s_delay_alu instid0(VALU_DEP_2)
	v_fma_f32 v144, v2, v82, -v0
	v_add_co_u32 v0, vcc_lo, 0x2530, v11
	v_add_co_ci_u32_e32 v1, vcc_lo, 0, v12, vcc_lo
	v_add_co_u32 v9, vcc_lo, 0x3000, v11
	v_add_co_ci_u32_e32 v10, vcc_lo, 0, v12, vcc_lo
	global_load_b128 v[96:99], v[0:1], off offset:16
	v_mul_f32_e32 v2, v2, v83
	global_load_b128 v[100:103], v[9:10], off offset:2032
	v_fmac_f32_e32 v2, v3, v82
	ds_load_2addr_b64 v[3:6], v191 offset0:96 offset1:216
	s_waitcnt vmcnt(2) lgkmcnt(0)
	v_mul_f32_e32 v7, v4, v95
	v_mul_f32_e32 v166, v3, v95
	s_delay_alu instid0(VALU_DEP_2) | instskip(SKIP_1) | instid1(VALU_DEP_2)
	v_fma_f32 v165, v3, v94, -v7
	s_waitcnt vmcnt(1)
	v_dual_fmac_f32 v166, v4, v94 :: v_dual_mul_f32 v3, v6, v99
	v_mul_f32_e32 v4, v5, v99
	s_delay_alu instid0(VALU_DEP_2) | instskip(NEXT) | instid1(VALU_DEP_2)
	v_fma_f32 v157, v5, v98, -v3
	v_fmac_f32_e32 v4, v6, v98
	ds_load_2addr_b64 v[5:8], v192 offset0:80 offset1:200
	s_waitcnt lgkmcnt(0)
	v_mul_f32_e32 v3, v6, v81
	v_mul_f32_e32 v149, v5, v81
	s_waitcnt vmcnt(0)
	v_mul_f32_e32 v154, v7, v101
	s_delay_alu instid0(VALU_DEP_3)
	v_fma_f32 v147, v5, v80, -v3
	v_add_co_u32 v5, vcc_lo, 0x37f0, v11
	v_fmac_f32_e32 v149, v6, v80
	v_mul_f32_e32 v3, v8, v101
	v_add_co_ci_u32_e32 v6, vcc_lo, 0, v12, vcc_lo
	v_fmac_f32_e32 v154, v8, v100
	s_delay_alu instid0(VALU_DEP_3)
	v_fma_f32 v152, v7, v100, -v3
	ds_load_2addr_b64 v[7:10], v184 offset0:128 offset1:248
	s_clause 0x2
	global_load_b128 v[112:115], v[5:6], off offset:16
	global_load_b64 v[196:197], v[0:1], off offset:32
	global_load_b64 v[202:203], v[5:6], off offset:32
	ds_load_2addr_b64 v[108:111], v248 offset0:48 offset1:168
	ds_load_2addr_b64 v[116:119], v186 offset0:32 offset1:152
	global_load_b64 v[200:201], v[130:131], off offset:32
	ds_load_2addr_b64 v[124:127], v188 offset0:64 offset1:184
	s_waitcnt lgkmcnt(3)
	v_mul_f32_e32 v174, v7, v97
	s_delay_alu instid0(VALU_DEP_1)
	v_fmac_f32_e32 v174, v8, v96
	s_waitcnt vmcnt(2) lgkmcnt(2)
	v_mul_f32_e32 v0, v109, v197
	v_mul_f32_e32 v176, v108, v197
	s_waitcnt vmcnt(1)
	v_mul_f32_e32 v146, v110, v203
	s_delay_alu instid0(VALU_DEP_3) | instskip(SKIP_2) | instid1(VALU_DEP_4)
	v_fma_f32 v175, v108, v196, -v0
	v_mul_f32_e32 v0, v111, v203
	v_fmac_f32_e32 v176, v109, v196
	v_fmac_f32_e32 v146, v111, v202
	s_delay_alu instid0(VALU_DEP_3) | instskip(SKIP_2) | instid1(VALU_DEP_1)
	v_fma_f32 v145, v110, v202, -v0
	s_waitcnt lgkmcnt(1)
	v_mul_f32_e32 v0, v117, v103
	v_fma_f32 v153, v116, v102, -v0
	v_add_co_u32 v0, vcc_lo, 0x4000, v11
	v_add_co_ci_u32_e32 v1, vcc_lo, 0, v12, vcc_lo
	v_add_co_u32 v159, vcc_lo, 0x4ab0, v11
	v_add_co_ci_u32_e32 v160, vcc_lo, 0, v12, vcc_lo
	global_load_b128 v[108:111], v[0:1], off offset:2736
	v_mul_f32_e32 v3, v8, v97
	v_add_co_u32 v5, vcc_lo, 0x5000, v11
	global_load_b128 v[120:123], v[159:160], off offset:16
	v_add_co_ci_u32_e32 v6, vcc_lo, 0, v12, vcc_lo
	s_waitcnt vmcnt(1)
	v_mul_f32_e32 v0, v119, v111
	s_waitcnt lgkmcnt(0)
	v_mul_f32_e32 v156, v124, v109
	s_delay_alu instid0(VALU_DEP_2) | instskip(SKIP_2) | instid1(VALU_DEP_4)
	v_fma_f32 v141, v118, v110, -v0
	v_mul_f32_e32 v0, v118, v111
	v_fma_f32 v173, v7, v96, -v3
	v_dual_mul_f32 v3, v10, v113 :: v_dual_fmac_f32 v156, v125, v108
	s_delay_alu instid0(VALU_DEP_3) | instskip(NEXT) | instid1(VALU_DEP_2)
	v_fmac_f32_e32 v0, v119, v110
	v_fma_f32 v8, v9, v112, -v3
	v_mul_f32_e32 v3, v116, v103
	s_delay_alu instid0(VALU_DEP_1)
	v_fmac_f32_e32 v3, v117, v102
	ds_load_2addr_b64 v[116:119], v182 offset0:80 offset1:200
	s_waitcnt lgkmcnt(0)
	v_mul_f32_e32 v1, v117, v115
	v_mul_f32_e32 v7, v116, v115
	s_waitcnt vmcnt(0)
	v_mul_f32_e32 v155, v118, v123
	s_delay_alu instid0(VALU_DEP_3) | instskip(SKIP_2) | instid1(VALU_DEP_4)
	v_fma_f32 v158, v116, v114, -v1
	v_mul_f32_e32 v1, v119, v123
	v_fmac_f32_e32 v7, v117, v114
	v_fmac_f32_e32 v155, v119, v122
	s_delay_alu instid0(VALU_DEP_3) | instskip(SKIP_2) | instid1(VALU_DEP_1)
	v_fma_f32 v150, v118, v122, -v1
	global_load_b128 v[116:119], v[5:6], off offset:3440
	v_mul_f32_e32 v1, v125, v109
	v_fma_f32 v143, v124, v108, -v1
	s_waitcnt vmcnt(0)
	v_mul_f32_e32 v14, v126, v117
	v_mul_f32_e32 v9, v9, v113
	;; [unrolled: 1-line block ×3, first 2 shown]
	s_delay_alu instid0(VALU_DEP_3) | instskip(NEXT) | instid1(VALU_DEP_3)
	v_fmac_f32_e32 v14, v127, v116
	v_fmac_f32_e32 v9, v10, v112
	s_delay_alu instid0(VALU_DEP_3)
	v_fma_f32 v13, v126, v116, -v1
	ds_load_2addr_b64 v[124:127], v187 offset0:16 offset1:136
	v_add_co_u32 v10, vcc_lo, 0x5d70, v11
	v_add_co_ci_u32_e32 v11, vcc_lo, 0, v12, vcc_lo
	s_waitcnt lgkmcnt(0)
	v_mul_f32_e32 v1, v127, v93
	v_mul_f32_e32 v168, v126, v93
	v_mul_f32_e32 v138, v124, v119
	s_delay_alu instid0(VALU_DEP_3) | instskip(NEXT) | instid1(VALU_DEP_3)
	v_fma_f32 v167, v126, v92, -v1
	v_fmac_f32_e32 v168, v127, v92
	ds_load_2addr_b64 v[126:129], v190 offset0:112 offset1:232
	v_mul_f32_e32 v1, v125, v119
	v_fmac_f32_e32 v138, v125, v118
	s_delay_alu instid0(VALU_DEP_2) | instskip(SKIP_3) | instid1(VALU_DEP_2)
	v_fma_f32 v137, v124, v118, -v1
	s_waitcnt lgkmcnt(0)
	v_mul_f32_e32 v1, v127, v121
	v_mul_f32_e32 v6, v126, v121
	v_fma_f32 v5, v126, v120, -v1
	s_delay_alu instid0(VALU_DEP_2) | instskip(SKIP_4) | instid1(VALU_DEP_2)
	v_fmac_f32_e32 v6, v127, v120
	global_load_b128 v[124:127], v[10:11], off offset:16
	s_waitcnt vmcnt(0)
	v_mul_f32_e32 v1, v129, v125
	v_mul_f32_e32 v139, v128, v125
	v_fma_f32 v140, v128, v124, -v1
	s_delay_alu instid0(VALU_DEP_2)
	v_fmac_f32_e32 v139, v129, v124
	ds_load_2addr_b64 v[128:131], v189 offset0:64 offset1:184
	s_clause 0x1
	global_load_b64 v[193:194], v[159:160], off offset:32
	global_load_b64 v[198:199], v[10:11], off offset:32
	ds_load_2addr_b64 v[159:162], v19 offset1:120
	s_waitcnt lgkmcnt(1)
	v_mul_f32_e32 v1, v131, v201
	v_mul_f32_e32 v170, v130, v201
	s_delay_alu instid0(VALU_DEP_2) | instskip(NEXT) | instid1(VALU_DEP_2)
	v_fma_f32 v169, v130, v200, -v1
	v_dual_mul_f32 v1, v129, v127 :: v_dual_fmac_f32 v170, v131, v200
	s_delay_alu instid0(VALU_DEP_1) | instskip(SKIP_1) | instid1(VALU_DEP_1)
	v_fma_f32 v142, v128, v126, -v1
	v_mul_f32_e32 v1, v128, v127
	v_fmac_f32_e32 v1, v129, v126
	ds_load_2addr_b64 v[128:131], v181 offset0:32 offset1:152
	s_waitcnt vmcnt(1) lgkmcnt(0)
	v_mul_f32_e32 v10, v129, v194
	v_mul_f32_e32 v177, v128, v194
	s_waitcnt vmcnt(0)
	v_mul_f32_e32 v11, v131, v199
	v_mul_f32_e32 v148, v130, v199
	v_fma_f32 v10, v128, v193, -v10
	v_fmac_f32_e32 v177, v129, v193
	s_delay_alu instid0(VALU_DEP_4) | instskip(NEXT) | instid1(VALU_DEP_4)
	v_fma_f32 v151, v130, v198, -v11
	v_fmac_f32_e32 v148, v131, v198
	ds_load_2addr_b64 v[128:131], v247 offset0:96 offset1:216
	s_waitcnt lgkmcnt(0)
	v_mul_f32_e32 v172, v130, v65
	s_delay_alu instid0(VALU_DEP_1) | instskip(SKIP_1) | instid1(VALU_DEP_1)
	v_fmac_f32_e32 v172, v131, v64
	v_mul_f32_e32 v11, v131, v65
	v_fma_f32 v171, v130, v64, -v11
	v_add_f32_e32 v11, v159, v163
	s_delay_alu instid0(VALU_DEP_1) | instskip(NEXT) | instid1(VALU_DEP_1)
	v_dual_add_f32 v130, v11, v165 :: v_dual_add_f32 v11, v160, v164
	v_add_f32_e32 v131, v11, v166
	s_delay_alu instid0(VALU_DEP_4) | instskip(NEXT) | instid1(VALU_DEP_1)
	v_add_f32_e32 v11, v171, v167
	v_dual_add_f32 v178, v11, v169 :: v_dual_add_f32 v11, v172, v168
	s_delay_alu instid0(VALU_DEP_1) | instskip(NEXT) | instid1(VALU_DEP_2)
	v_add_f32_e32 v179, v11, v170
	v_add_f32_e32 v11, v130, v178
	v_sub_f32_e32 v130, v130, v178
	v_sub_f32_e32 v178, v164, v166
	v_add_f32_e32 v164, v164, v166
	v_add_f32_e32 v166, v168, v170
	s_delay_alu instid0(VALU_DEP_2) | instskip(NEXT) | instid1(VALU_DEP_2)
	v_fma_f32 v164, -0.5, v164, v160
	v_fmac_f32_e32 v172, -0.5, v166
	v_add_f32_e32 v166, v167, v169
	v_sub_f32_e32 v169, v167, v169
	v_add_f32_e32 v167, v163, v165
	v_sub_f32_e32 v163, v163, v165
	v_sub_f32_e32 v165, v168, v170
	s_delay_alu instid0(VALU_DEP_4) | instskip(NEXT) | instid1(VALU_DEP_1)
	v_dual_fmac_f32 v171, -0.5, v166 :: v_dual_fmamk_f32 v166, v169, 0xbf5db3d7, v172
	v_fmamk_f32 v168, v165, 0x3f5db3d7, v171
	s_delay_alu instid0(VALU_DEP_2) | instskip(NEXT) | instid1(VALU_DEP_1)
	v_mul_f32_e32 v170, 0x3f5db3d7, v166
	v_fmac_f32_e32 v170, 0.5, v168
	v_mul_f32_e32 v168, 0xbf5db3d7, v168
	v_add_f32_e32 v12, v131, v179
	s_delay_alu instid0(VALU_DEP_2)
	v_fmac_f32_e32 v168, 0.5, v166
	v_fma_f32 v166, -0.5, v167, v159
	v_sub_f32_e32 v131, v131, v179
	v_fmamk_f32 v179, v163, 0xbf5db3d7, v164
	v_fmac_f32_e32 v164, 0x3f5db3d7, v163
	v_fmac_f32_e32 v172, 0x3f5db3d7, v169
	s_delay_alu instid0(VALU_DEP_3) | instskip(SKIP_1) | instid1(VALU_DEP_3)
	v_add_f32_e32 v160, v179, v168
	v_dual_sub_f32 v168, v179, v168 :: v_dual_fmac_f32 v171, 0xbf5db3d7, v165
	v_mul_f32_e32 v165, -0.5, v172
	s_delay_alu instid0(VALU_DEP_2) | instskip(NEXT) | instid1(VALU_DEP_2)
	v_mul_f32_e32 v163, -0.5, v171
	v_fmac_f32_e32 v165, 0xbf5db3d7, v171
	v_fmamk_f32 v167, v178, 0x3f5db3d7, v166
	v_fmac_f32_e32 v166, 0xbf5db3d7, v178
	s_delay_alu instid0(VALU_DEP_3) | instskip(NEXT) | instid1(VALU_DEP_3)
	v_dual_fmac_f32 v163, 0x3f5db3d7, v172 :: v_dual_sub_f32 v172, v164, v165
	v_add_f32_e32 v159, v167, v170
	v_dual_sub_f32 v167, v167, v170 :: v_dual_add_f32 v170, v164, v165
	s_delay_alu instid0(VALU_DEP_3)
	v_add_f32_e32 v169, v166, v163
	v_sub_f32_e32 v171, v166, v163
	ds_load_2addr_b64 v[163:166], v255 offset0:112 offset1:232
	ds_store_b64 v19, v[159:160] offset:4800
	ds_store_b64 v19, v[169:170] offset:9600
	ds_store_b64 v19, v[130:131] offset:14400
	ds_store_b64 v19, v[167:168] offset:19200
	ds_store_b64 v19, v[171:172] offset:24000
	v_add_f32_e32 v130, v161, v144
	s_delay_alu instid0(VALU_DEP_1) | instskip(SKIP_1) | instid1(VALU_DEP_1)
	v_add_f32_e32 v159, v130, v157
	v_add_f32_e32 v130, v162, v2
	;; [unrolled: 1-line block ×4, first 2 shown]
	s_delay_alu instid0(VALU_DEP_1) | instskip(NEXT) | instid1(VALU_DEP_1)
	v_dual_add_f32 v167, v130, v175 :: v_dual_add_f32 v130, v149, v174
	v_add_f32_e32 v168, v130, v176
	s_delay_alu instid0(VALU_DEP_1)
	v_dual_add_f32 v130, v159, v167 :: v_dual_add_f32 v131, v160, v168
	ds_store_2addr_b64 v19, v[11:12], v[130:131] offset1:120
	v_sub_f32_e32 v130, v173, v175
	v_dual_sub_f32 v11, v159, v167 :: v_dual_sub_f32 v12, v160, v168
	v_sub_f32_e32 v131, v144, v157
	v_dual_add_f32 v159, v152, v8 :: v_dual_add_f32 v160, v154, v9
	v_sub_f32_e32 v167, v8, v145
	ds_store_b64 v19, v[11:12] offset:15360
	v_add_f32_e32 v11, v2, v4
	v_sub_f32_e32 v2, v2, v4
	v_add_f32_e32 v4, v174, v176
	v_sub_f32_e32 v168, v9, v146
	s_delay_alu instid0(VALU_DEP_4) | instskip(NEXT) | instid1(VALU_DEP_3)
	v_dual_fmac_f32 v162, -0.5, v11 :: v_dual_add_f32 v11, v144, v157
	v_dual_fmac_f32 v149, -0.5, v4 :: v_dual_add_f32 v4, v173, v175
	s_delay_alu instid0(VALU_DEP_2) | instskip(NEXT) | instid1(VALU_DEP_2)
	v_fma_f32 v161, -0.5, v11, v161
	v_fmamk_f32 v12, v130, 0xbf5db3d7, v149
	s_delay_alu instid0(VALU_DEP_3) | instskip(SKIP_2) | instid1(VALU_DEP_4)
	v_fmac_f32_e32 v147, -0.5, v4
	v_sub_f32_e32 v4, v174, v176
	v_dual_fmamk_f32 v172, v131, 0xbf5db3d7, v162 :: v_dual_add_f32 v11, v153, v158
	v_mul_f32_e32 v157, 0x3f5db3d7, v12
	v_fmamk_f32 v171, v2, 0x3f5db3d7, v161
	s_delay_alu instid0(VALU_DEP_4) | instskip(SKIP_3) | instid1(VALU_DEP_3)
	v_fmamk_f32 v144, v4, 0x3f5db3d7, v147
	v_sub_f32_e32 v176, v153, v158
	s_waitcnt lgkmcnt(7)
	v_fma_f32 v173, -0.5, v11, v163
	v_fmac_f32_e32 v157, 0.5, v144
	v_mul_f32_e32 v144, 0xbf5db3d7, v144
	s_delay_alu instid0(VALU_DEP_1) | instskip(SKIP_1) | instid1(VALU_DEP_1)
	v_fmac_f32_e32 v144, 0.5, v12
	v_add_f32_e32 v12, v8, v145
	v_fmac_f32_e32 v152, -0.5, v12
	v_add_f32_e32 v12, v9, v146
	v_dual_fmac_f32 v162, 0x3f5db3d7, v131 :: v_dual_fmac_f32 v149, 0x3f5db3d7, v130
	v_fmac_f32_e32 v147, 0xbf5db3d7, v4
	s_delay_alu instid0(VALU_DEP_4) | instskip(NEXT) | instid1(VALU_DEP_4)
	v_fmamk_f32 v9, v168, 0x3f5db3d7, v152
	v_fmac_f32_e32 v154, -0.5, v12
	s_delay_alu instid0(VALU_DEP_4) | instskip(NEXT) | instid1(VALU_DEP_3)
	v_dual_mul_f32 v4, -0.5, v149 :: v_dual_fmac_f32 v161, 0xbf5db3d7, v2
	v_mul_f32_e32 v170, 0xbf5db3d7, v9
	s_delay_alu instid0(VALU_DEP_3)
	v_fmamk_f32 v8, v167, 0xbf5db3d7, v154
	v_mul_f32_e32 v2, -0.5, v147
	v_sub_f32_e32 v175, v3, v7
	v_fmac_f32_e32 v4, 0xbf5db3d7, v147
	v_add_nc_u32_e32 v15, 0x2800, v19
	v_mul_f32_e32 v169, 0x3f5db3d7, v8
	v_fmac_f32_e32 v170, 0.5, v8
	v_add_f32_e32 v8, v171, v157
	v_fmac_f32_e32 v2, 0x3f5db3d7, v149
	s_delay_alu instid0(VALU_DEP_4) | instskip(SKIP_1) | instid1(VALU_DEP_2)
	v_dual_fmac_f32 v154, 0x3f5db3d7, v167 :: v_dual_fmac_f32 v169, 0.5, v9
	v_dual_add_f32 v11, v3, v7 :: v_dual_fmac_f32 v152, 0xbf5db3d7, v168
	v_dual_fmamk_f32 v178, v175, 0x3f5db3d7, v173 :: v_dual_mul_f32 v131, -0.5, v154
	v_add_f32_e32 v9, v172, v144
	s_delay_alu instid0(VALU_DEP_3) | instskip(NEXT) | instid1(VALU_DEP_4)
	v_fma_f32 v174, -0.5, v11, v164
	v_dual_fmac_f32 v173, 0xbf5db3d7, v175 :: v_dual_mul_f32 v130, -0.5, v152
	s_delay_alu instid0(VALU_DEP_4) | instskip(NEXT) | instid1(VALU_DEP_3)
	v_fmac_f32_e32 v131, 0xbf5db3d7, v152
	v_fmamk_f32 v179, v176, 0xbf5db3d7, v174
	s_delay_alu instid0(VALU_DEP_1) | instskip(SKIP_4) | instid1(VALU_DEP_2)
	v_dual_add_f32 v11, v178, v169 :: v_dual_add_f32 v12, v179, v170
	ds_store_2addr_b64 v192, v[8:9], v[11:12] offset0:80 offset1:200
	v_dual_add_f32 v9, v162, v4 :: v_dual_fmac_f32 v130, 0x3f5db3d7, v154
	v_fmac_f32_e32 v174, 0x3f5db3d7, v176
	v_add_f32_e32 v8, v161, v2
	v_dual_add_f32 v11, v173, v130 :: v_dual_add_f32 v12, v174, v131
	ds_store_2addr_b64 v15, v[8:9], v[11:12] offset0:40 offset1:160
	v_sub_f32_e32 v8, v171, v157
	v_dual_mov_b32 v220, v15 :: v_dual_sub_f32 v11, v178, v169
	v_dual_sub_f32 v9, v172, v144 :: v_dual_sub_f32 v12, v179, v170
	v_add_nc_u32_e32 v15, 0x4c00, v19
	ds_store_2addr_b64 v15, v[8:9], v[11:12] offset0:88 offset1:208
	v_dual_mov_b32 v218, v15 :: v_dual_sub_f32 v9, v162, v4
	v_sub_f32_e32 v8, v161, v2
	v_dual_sub_f32 v11, v173, v130 :: v_dual_sub_f32 v12, v174, v131
	v_mov_b32_e32 v15, v181
	ds_store_2addr_b64 v248, v[8:9], v[11:12] offset0:48 offset1:168
	v_dual_add_f32 v11, v159, v145 :: v_dual_add_f32 v12, v160, v146
	v_add_f32_e32 v2, v163, v153
	s_delay_alu instid0(VALU_DEP_1) | instskip(SKIP_1) | instid1(VALU_DEP_1)
	v_add_f32_e32 v4, v2, v158
	v_add_f32_e32 v2, v164, v3
	v_dual_add_f32 v9, v2, v7 :: v_dual_add_f32 v2, v165, v141
	s_delay_alu instid0(VALU_DEP_1) | instskip(SKIP_1) | instid1(VALU_DEP_1)
	v_add_f32_e32 v130, v2, v150
	v_add_f32_e32 v2, v166, v0
	v_dual_add_f32 v131, v2, v155 :: v_dual_add_f32 v2, v143, v5
	s_delay_alu instid0(VALU_DEP_1) | instskip(NEXT) | instid1(VALU_DEP_1)
	v_dual_add_f32 v3, v9, v12 :: v_dual_add_f32 v144, v2, v10
	v_dual_add_f32 v2, v156, v6 :: v_dual_add_f32 v7, v130, v144
	s_delay_alu instid0(VALU_DEP_1) | instskip(NEXT) | instid1(VALU_DEP_1)
	v_dual_add_f32 v145, v2, v177 :: v_dual_add_f32 v2, v4, v11
	v_add_f32_e32 v8, v131, v145
	ds_store_2addr_b64 v255, v[2:3], v[7:8] offset0:112 offset1:232
	v_dual_sub_f32 v3, v9, v12 :: v_dual_sub_f32 v2, v4, v11
	v_add_f32_e32 v4, v141, v150
	s_delay_alu instid0(VALU_DEP_1) | instskip(SKIP_2) | instid1(VALU_DEP_1)
	v_fma_f32 v9, -0.5, v4, v165
	v_sub_f32_e32 v4, v0, v155
	v_add_f32_e32 v0, v0, v155
	v_dual_fmamk_f32 v11, v4, 0x3f5db3d7, v9 :: v_dual_fmac_f32 v166, -0.5, v0
	v_dual_sub_f32 v0, v141, v150 :: v_dual_fmac_f32 v9, 0xbf5db3d7, v4
	s_delay_alu instid0(VALU_DEP_1) | instskip(SKIP_2) | instid1(VALU_DEP_2)
	v_fmamk_f32 v12, v0, 0xbf5db3d7, v166
	v_add_f32_e32 v4, v5, v10
	v_fmac_f32_e32 v166, 0x3f5db3d7, v0
	v_dual_fmac_f32 v143, -0.5, v4 :: v_dual_add_f32 v4, v6, v177
	v_sub_f32_e32 v6, v6, v177
	v_sub_f32_e32 v7, v130, v144
	s_delay_alu instid0(VALU_DEP_3) | instskip(SKIP_1) | instid1(VALU_DEP_4)
	v_fmac_f32_e32 v156, -0.5, v4
	v_sub_f32_e32 v4, v5, v10
	v_fmamk_f32 v10, v6, 0x3f5db3d7, v143
	v_dual_fmac_f32 v143, 0xbf5db3d7, v6 :: v_dual_sub_f32 v8, v131, v145
	s_delay_alu instid0(VALU_DEP_3) | instskip(SKIP_1) | instid1(VALU_DEP_3)
	v_fmamk_f32 v0, v4, 0xbf5db3d7, v156
	v_fmac_f32_e32 v156, 0x3f5db3d7, v4
	v_mul_f32_e32 v6, -0.5, v143
	s_delay_alu instid0(VALU_DEP_2) | instskip(NEXT) | instid1(VALU_DEP_2)
	v_mul_f32_e32 v130, -0.5, v156
	v_fmac_f32_e32 v6, 0x3f5db3d7, v156
	s_delay_alu instid0(VALU_DEP_2) | instskip(NEXT) | instid1(VALU_DEP_2)
	v_fmac_f32_e32 v130, 0xbf5db3d7, v143
	v_add_f32_e32 v4, v9, v6
	s_delay_alu instid0(VALU_DEP_2)
	v_add_f32_e32 v5, v166, v130
	ds_store_b64 v19, v[4:5] offset:12480
	v_add_nc_u32_e32 v4, 0x3c00, v19
	ds_store_2addr_b64 v4, v[2:3], v[7:8] offset0:120 offset1:240
	v_sub_f32_e32 v2, v9, v6
	v_mul_f32_e32 v6, 0x3f5db3d7, v0
	v_dual_mov_b32 v216, v4 :: v_dual_sub_f32 v3, v166, v130
	s_delay_alu instid0(VALU_DEP_2) | instskip(NEXT) | instid1(VALU_DEP_1)
	v_fmac_f32_e32 v6, 0.5, v10
	v_sub_f32_e32 v4, v11, v6
	v_add_f32_e32 v6, v11, v6
	v_sub_f32_e32 v11, v139, v148
	v_mul_f32_e32 v7, 0xbf5db3d7, v10
	s_delay_alu instid0(VALU_DEP_1) | instskip(SKIP_1) | instid1(VALU_DEP_2)
	v_dual_sub_f32 v10, v137, v142 :: v_dual_fmac_f32 v7, 0.5, v0
	v_add_f32_e32 v0, v128, v137
	v_sub_f32_e32 v5, v12, v7
	ds_store_b64 v19, v[2:3] offset:26880
	ds_store_b64 v19, v[4:5] offset:22080
	v_add_f32_e32 v4, v0, v142
	v_dual_add_f32 v0, v129, v138 :: v_dual_add_f32 v7, v12, v7
	s_delay_alu instid0(VALU_DEP_1) | instskip(NEXT) | instid1(VALU_DEP_1)
	v_dual_add_f32 v5, v0, v1 :: v_dual_add_f32 v0, v13, v140
	v_add_f32_e32 v8, v0, v151
	v_add_f32_e32 v0, v14, v139
	s_delay_alu instid0(VALU_DEP_2) | instskip(NEXT) | instid1(VALU_DEP_2)
	v_add_f32_e32 v2, v4, v8
	v_dual_add_f32 v9, v0, v148 :: v_dual_add_f32 v0, v138, v1
	s_delay_alu instid0(VALU_DEP_1) | instskip(NEXT) | instid1(VALU_DEP_2)
	v_dual_sub_f32 v4, v4, v8 :: v_dual_add_f32 v3, v5, v9
	v_fmac_f32_e32 v129, -0.5, v0
	v_dual_add_f32 v0, v139, v148 :: v_dual_sub_f32 v5, v5, v9
	ds_store_b64 v19, v[2:3] offset:3840
	v_dual_sub_f32 v3, v140, v151 :: v_dual_fmac_f32 v14, -0.5, v0
	v_add_f32_e32 v0, v140, v151
	v_dual_sub_f32 v2, v138, v1 :: v_dual_add_f32 v1, v137, v142
	v_fmamk_f32 v137, v10, 0xbf5db3d7, v129
	v_fmac_f32_e32 v129, 0x3f5db3d7, v10
	s_delay_alu instid0(VALU_DEP_4) | instskip(NEXT) | instid1(VALU_DEP_4)
	v_dual_fmac_f32 v13, -0.5, v0 :: v_dual_fmamk_f32 v0, v3, 0xbf5db3d7, v14
	v_fma_f32 v128, -0.5, v1, v128
	v_fmac_f32_e32 v14, 0x3f5db3d7, v3
	s_delay_alu instid0(VALU_DEP_3) | instskip(NEXT) | instid1(VALU_DEP_3)
	v_fmamk_f32 v12, v11, 0x3f5db3d7, v13
	v_dual_mul_f32 v130, 0x3f5db3d7, v0 :: v_dual_fmamk_f32 v131, v2, 0x3f5db3d7, v128
	v_dual_fmac_f32 v13, 0xbf5db3d7, v11 :: v_dual_fmac_f32 v128, 0xbf5db3d7, v2
	s_delay_alu instid0(VALU_DEP_2) | instskip(SKIP_1) | instid1(VALU_DEP_3)
	v_fmac_f32_e32 v130, 0.5, v12
	v_mul_f32_e32 v12, 0xbf5db3d7, v12
	v_mul_f32_e32 v2, -0.5, v13
	s_delay_alu instid0(VALU_DEP_2) | instskip(NEXT) | instid1(VALU_DEP_4)
	v_fmac_f32_e32 v12, 0.5, v0
	v_add_f32_e32 v0, v131, v130
	s_delay_alu instid0(VALU_DEP_2) | instskip(SKIP_4) | instid1(VALU_DEP_3)
	v_dual_fmac_f32 v2, 0x3f5db3d7, v14 :: v_dual_add_f32 v1, v137, v12
	ds_store_2addr_b64 v188, v[6:7], v[0:1] offset0:64 offset1:184
	v_mul_f32_e32 v0, -0.5, v14
	v_dual_sub_f32 v6, v131, v130 :: v_dual_sub_f32 v7, v137, v12
	v_add_co_u32 v14, s8, s2, v19
	v_fmac_f32_e32 v0, 0xbf5db3d7, v13
	v_add_co_ci_u32_e64 v175, null, s3, 0, s8
	s_delay_alu instid0(VALU_DEP_2)
	v_add_f32_e32 v1, v129, v0
	v_dual_sub_f32 v3, v129, v0 :: v_dual_add_f32 v0, v128, v2
	v_sub_f32_e32 v2, v128, v2
	ds_store_b64 v19, v[0:1] offset:13440
	ds_store_b64 v19, v[4:5] offset:18240
	;; [unrolled: 1-line block ×4, first 2 shown]
	s_waitcnt lgkmcnt(0)
	s_barrier
	buffer_gl0_inv
	s_clause 0x1
	global_load_b64 v[4:5], v19, s[2:3]
	global_load_b64 v[151:152], v19, s[2:3] offset:2880
	ds_load_2addr_b64 v[0:3], v19 offset1:120
	s_clause 0x1
	global_load_b64 v[155:156], v19, s[2:3] offset:3840
	global_load_b64 v[167:168], v136, s[2:3]
	s_waitcnt vmcnt(3) lgkmcnt(0)
	v_mul_f32_e32 v6, v1, v5
	v_mul_f32_e32 v7, v0, v5
	s_delay_alu instid0(VALU_DEP_2) | instskip(NEXT) | instid1(VALU_DEP_2)
	v_fma_f32 v6, v0, v4, -v6
	v_fmac_f32_e32 v7, v1, v4
	global_load_b64 v[0:1], v19, s[2:3] offset:960
	ds_store_b64 v19, v[6:7]
	v_add_co_u32 v6, vcc_lo, 0x1000, v14
	v_add_co_ci_u32_e32 v7, vcc_lo, 0, v175, vcc_lo
	v_add_co_u32 v12, vcc_lo, 0x2000, v14
	v_add_co_ci_u32_e32 v13, vcc_lo, 0, v175, vcc_lo
	s_clause 0x2
	global_load_b64 v[8:9], v[6:7], off offset:1664
	global_load_b64 v[128:129], v[12:13], off offset:3328
	;; [unrolled: 1-line block ×3, first 2 shown]
	s_waitcnt vmcnt(3)
	v_mul_f32_e32 v4, v3, v1
	v_mul_f32_e32 v5, v2, v1
	s_delay_alu instid0(VALU_DEP_2) | instskip(NEXT) | instid1(VALU_DEP_2)
	v_fma_f32 v4, v2, v0, -v4
	v_fmac_f32_e32 v5, v3, v0
	ds_load_2addr_b64 v[0:3], v192 offset0:80 offset1:200
	s_waitcnt vmcnt(2) lgkmcnt(0)
	v_mul_f32_e32 v10, v1, v9
	v_mul_f32_e32 v11, v0, v9
	s_delay_alu instid0(VALU_DEP_2) | instskip(NEXT) | instid1(VALU_DEP_2)
	v_fma_f32 v10, v0, v8, -v10
	v_fmac_f32_e32 v11, v1, v8
	global_load_b64 v[0:1], v[6:7], off offset:2624
	s_waitcnt vmcnt(0)
	v_mul_f32_e32 v8, v3, v1
	v_mul_f32_e32 v9, v2, v1
	s_delay_alu instid0(VALU_DEP_2) | instskip(NEXT) | instid1(VALU_DEP_2)
	v_fma_f32 v8, v2, v0, -v8
	v_fmac_f32_e32 v9, v3, v0
	ds_load_2addr_b64 v[0:3], v186 offset0:32 offset1:152
	s_waitcnt lgkmcnt(0)
	v_mul_f32_e32 v130, v1, v129
	v_mul_f32_e32 v131, v0, v129
	s_delay_alu instid0(VALU_DEP_2) | instskip(NEXT) | instid1(VALU_DEP_2)
	v_fma_f32 v130, v0, v128, -v130
	v_fmac_f32_e32 v131, v1, v128
	v_add_co_u32 v128, vcc_lo, 0x3000, v14
	v_add_co_ci_u32_e32 v129, vcc_lo, 0, v175, vcc_lo
	v_add_co_u32 v139, vcc_lo, 0x4000, v14
	v_add_co_ci_u32_e32 v140, vcc_lo, 0, v175, vcc_lo
	global_load_b64 v[0:1], v[128:129], off offset:192
	v_add_co_u32 v145, vcc_lo, 0x5000, v14
	global_load_b64 v[141:142], v[139:140], off offset:896
	v_add_co_ci_u32_e32 v146, vcc_lo, 0, v175, vcc_lo
	global_load_b64 v[147:148], v[145:146], off offset:2560
	s_waitcnt vmcnt(2)
	v_mul_f32_e32 v137, v3, v1
	v_mul_f32_e32 v138, v2, v1
	s_delay_alu instid0(VALU_DEP_2) | instskip(NEXT) | instid1(VALU_DEP_2)
	v_fma_f32 v137, v2, v0, -v137
	v_fmac_f32_e32 v138, v3, v0
	ds_load_2addr_b64 v[0:3], v190 offset0:112 offset1:232
	s_waitcnt vmcnt(1) lgkmcnt(0)
	v_mul_f32_e32 v143, v1, v142
	v_mul_f32_e32 v144, v0, v142
	s_delay_alu instid0(VALU_DEP_2) | instskip(NEXT) | instid1(VALU_DEP_2)
	v_fma_f32 v143, v0, v141, -v143
	v_fmac_f32_e32 v144, v1, v141
	global_load_b64 v[0:1], v[139:140], off offset:1856
	s_waitcnt vmcnt(0)
	v_mul_f32_e32 v141, v3, v1
	v_mul_f32_e32 v142, v2, v1
	s_delay_alu instid0(VALU_DEP_2) | instskip(NEXT) | instid1(VALU_DEP_2)
	v_fma_f32 v141, v2, v0, -v141
	v_fmac_f32_e32 v142, v3, v0
	ds_load_2addr_b64 v[0:3], v189 offset0:64 offset1:184
	s_waitcnt lgkmcnt(0)
	v_mul_f32_e32 v149, v1, v148
	v_mul_f32_e32 v150, v0, v148
	s_delay_alu instid0(VALU_DEP_2) | instskip(NEXT) | instid1(VALU_DEP_2)
	v_fma_f32 v149, v0, v147, -v149
	v_fmac_f32_e32 v150, v1, v147
	global_load_b64 v[0:1], v[145:146], off offset:3520
	s_waitcnt vmcnt(0)
	v_mul_f32_e32 v147, v3, v1
	v_mul_f32_e32 v148, v2, v1
	s_delay_alu instid0(VALU_DEP_2) | instskip(NEXT) | instid1(VALU_DEP_2)
	v_fma_f32 v147, v2, v0, -v147
	v_fmac_f32_e32 v148, v3, v0
	ds_load_2addr_b64 v[0:3], v255 offset0:112 offset1:232
	s_waitcnt lgkmcnt(0)
	v_mul_f32_e32 v153, v3, v152
	v_mul_f32_e32 v154, v2, v152
	s_delay_alu instid0(VALU_DEP_2) | instskip(NEXT) | instid1(VALU_DEP_2)
	v_fma_f32 v153, v2, v151, -v153
	v_fmac_f32_e32 v154, v3, v151
	global_load_b64 v[2:3], v19, s[2:3] offset:1920
	s_mov_b32 s2, 0x789abcdf
	s_mov_b32 s3, 0x3f323456
	s_waitcnt vmcnt(0)
	v_mul_f32_e32 v151, v1, v3
	v_mul_f32_e32 v152, v0, v3
	s_delay_alu instid0(VALU_DEP_2) | instskip(NEXT) | instid1(VALU_DEP_2)
	v_fma_f32 v151, v0, v2, -v151
	v_fmac_f32_e32 v152, v1, v2
	ds_load_2addr_b64 v[0:3], v247 offset0:96 offset1:216
	s_waitcnt lgkmcnt(0)
	v_mul_f32_e32 v157, v1, v156
	v_mul_f32_e32 v158, v0, v156
	s_delay_alu instid0(VALU_DEP_2) | instskip(NEXT) | instid1(VALU_DEP_2)
	v_fma_f32 v157, v0, v155, -v157
	v_fmac_f32_e32 v158, v1, v155
	global_load_b64 v[0:1], v[6:7], off offset:704
	s_waitcnt vmcnt(0)
	v_mul_f32_e32 v155, v3, v1
	v_mul_f32_e32 v156, v2, v1
	s_delay_alu instid0(VALU_DEP_2) | instskip(NEXT) | instid1(VALU_DEP_2)
	v_fma_f32 v155, v2, v0, -v155
	v_fmac_f32_e32 v156, v3, v0
	ds_load_2addr_b64 v[0:3], v188 offset0:64 offset1:184
	s_waitcnt lgkmcnt(0)
	v_mul_f32_e32 v161, v3, v160
	v_mul_f32_e32 v162, v2, v160
	s_delay_alu instid0(VALU_DEP_2) | instskip(NEXT) | instid1(VALU_DEP_2)
	v_fma_f32 v161, v2, v159, -v161
	v_fmac_f32_e32 v162, v3, v159
	s_clause 0x1
	global_load_b64 v[2:3], v[6:7], off offset:3584
	global_load_b64 v[159:160], v[12:13], off offset:1408
	s_waitcnt vmcnt(1)
	v_mul_f32_e32 v6, v1, v3
	v_mul_f32_e32 v7, v0, v3
	s_delay_alu instid0(VALU_DEP_2) | instskip(NEXT) | instid1(VALU_DEP_2)
	v_fma_f32 v6, v0, v2, -v6
	v_fmac_f32_e32 v7, v1, v2
	ds_load_2addr_b64 v[0:3], v180 offset0:48 offset1:168
	s_waitcnt vmcnt(0) lgkmcnt(0)
	v_mul_f32_e32 v163, v1, v160
	v_mul_f32_e32 v164, v0, v160
	s_delay_alu instid0(VALU_DEP_2) | instskip(NEXT) | instid1(VALU_DEP_2)
	v_fma_f32 v163, v0, v159, -v163
	v_fmac_f32_e32 v164, v1, v159
	s_clause 0x1
	global_load_b64 v[0:1], v[12:13], off offset:2368
	global_load_b64 v[159:160], v[128:129], off offset:2112
	s_waitcnt vmcnt(1)
	v_mul_f32_e32 v12, v3, v1
	v_mul_f32_e32 v13, v2, v1
	s_delay_alu instid0(VALU_DEP_2) | instskip(NEXT) | instid1(VALU_DEP_2)
	v_fma_f32 v12, v2, v0, -v12
	v_fmac_f32_e32 v13, v3, v0
	ds_load_2addr_b64 v[0:3], v187 offset0:16 offset1:136
	s_waitcnt vmcnt(0) lgkmcnt(0)
	v_mul_f32_e32 v165, v3, v160
	v_mul_f32_e32 v166, v2, v160
	s_delay_alu instid0(VALU_DEP_2) | instskip(NEXT) | instid1(VALU_DEP_2)
	v_fma_f32 v165, v2, v159, -v165
	v_fmac_f32_e32 v166, v3, v159
	global_load_b64 v[2:3], v[128:129], off offset:1152
	s_waitcnt vmcnt(0)
	v_mul_f32_e32 v159, v1, v3
	v_mul_f32_e32 v160, v0, v3
	s_delay_alu instid0(VALU_DEP_2) | instskip(NEXT) | instid1(VALU_DEP_2)
	v_fma_f32 v159, v0, v2, -v159
	v_fmac_f32_e32 v160, v1, v2
	ds_load_2addr_b64 v[0:3], v184 offset0:128 offset1:248
	s_waitcnt lgkmcnt(0)
	v_mul_f32_e32 v136, v1, v168
	v_mul_f32_e32 v170, v0, v168
	s_delay_alu instid0(VALU_DEP_2) | instskip(NEXT) | instid1(VALU_DEP_2)
	v_fma_f32 v169, v0, v167, -v136
	v_fmac_f32_e32 v170, v1, v167
	s_clause 0x1
	global_load_b64 v[0:1], v[128:129], off offset:4032
	global_load_b64 v[167:168], v[139:140], off offset:3776
	s_waitcnt vmcnt(1)
	v_mul_f32_e32 v128, v3, v1
	v_mul_f32_e32 v129, v2, v1
	s_delay_alu instid0(VALU_DEP_2) | instskip(NEXT) | instid1(VALU_DEP_2)
	v_fma_f32 v128, v2, v0, -v128
	v_fmac_f32_e32 v129, v3, v0
	ds_load_2addr_b64 v[0:3], v191 offset0:96 offset1:216
	s_waitcnt vmcnt(0) lgkmcnt(0)
	v_mul_f32_e32 v136, v3, v168
	v_mul_f32_e32 v172, v2, v168
	s_delay_alu instid0(VALU_DEP_2) | instskip(NEXT) | instid1(VALU_DEP_2)
	v_fma_f32 v171, v2, v167, -v136
	v_fmac_f32_e32 v172, v3, v167
	s_clause 0x1
	global_load_b64 v[2:3], v[139:140], off offset:2816
	global_load_b64 v[167:168], v[145:146], off offset:640
	s_waitcnt vmcnt(1)
	v_mul_f32_e32 v136, v1, v3
	v_mul_f32_e32 v140, v0, v3
	s_delay_alu instid0(VALU_DEP_2) | instskip(NEXT) | instid1(VALU_DEP_2)
	v_fma_f32 v139, v0, v2, -v136
	v_fmac_f32_e32 v140, v1, v2
	ds_load_2addr_b64 v[0:3], v182 offset0:80 offset1:200
	s_waitcnt vmcnt(0) lgkmcnt(0)
	v_mul_f32_e32 v136, v1, v168
	v_mul_f32_e32 v174, v0, v168
	s_delay_alu instid0(VALU_DEP_2) | instskip(NEXT) | instid1(VALU_DEP_2)
	v_fma_f32 v173, v0, v167, -v136
	v_fmac_f32_e32 v174, v1, v167
	global_load_b64 v[0:1], v[145:146], off offset:1600
	v_add_co_u32 v167, vcc_lo, 0x6000, v14
	v_add_co_ci_u32_e32 v168, vcc_lo, 0, v175, vcc_lo
	s_clause 0x1
	global_load_b64 v[175:176], v[167:168], off offset:1344
	global_load_b64 v[179:180], v[167:168], off offset:2304
	s_waitcnt vmcnt(2)
	v_mul_f32_e32 v136, v3, v1
	v_mul_f32_e32 v146, v2, v1
	s_delay_alu instid0(VALU_DEP_2) | instskip(NEXT) | instid1(VALU_DEP_2)
	v_fma_f32 v145, v2, v0, -v136
	v_fmac_f32_e32 v146, v3, v0
	ds_load_2addr_b64 v[0:3], v248 offset0:48 offset1:168
	s_waitcnt vmcnt(1) lgkmcnt(0)
	v_mul_f32_e32 v14, v3, v176
	v_mul_f32_e32 v178, v2, v176
	s_delay_alu instid0(VALU_DEP_2) | instskip(NEXT) | instid1(VALU_DEP_2)
	v_fma_f32 v177, v2, v175, -v14
	v_fmac_f32_e32 v178, v3, v175
	global_load_b64 v[2:3], v[167:168], off offset:384
	s_waitcnt vmcnt(0)
	v_mul_f32_e32 v14, v1, v3
	v_mul_f32_e32 v176, v0, v3
	s_delay_alu instid0(VALU_DEP_2) | instskip(NEXT) | instid1(VALU_DEP_2)
	v_fma_f32 v175, v0, v2, -v14
	v_fmac_f32_e32 v176, v1, v2
	ds_load_2addr_b64 v[0:3], v181 offset0:32 offset1:152
	s_waitcnt lgkmcnt(0)
	v_mul_f32_e32 v14, v1, v180
	v_mul_f32_e32 v182, v0, v180
	s_delay_alu instid0(VALU_DEP_2) | instskip(NEXT) | instid1(VALU_DEP_2)
	v_fma_f32 v181, v0, v179, -v14
	v_fmac_f32_e32 v182, v1, v179
	global_load_b64 v[0:1], v[167:168], off offset:3264
	s_waitcnt vmcnt(0)
	v_mul_f32_e32 v14, v3, v1
	v_mul_f32_e32 v168, v2, v1
	s_delay_alu instid0(VALU_DEP_2) | instskip(NEXT) | instid1(VALU_DEP_2)
	v_fma_f32 v167, v2, v0, -v14
	v_fmac_f32_e32 v168, v3, v0
	v_add_nc_u32_e32 v0, 0x800, v19
	ds_store_2addr_b64 v0, v[153:154], v[157:158] offset0:104 offset1:224
	v_add_nc_u32_e32 v0, 0x2000, v19
	ds_store_2addr_b64 v0, v[161:162], v[163:164] offset0:56 offset1:176
	v_add_nc_u32_e32 v0, 0x6400, v19
	ds_store_2addr_b64 v0, v[177:178], v[181:182] offset0:40 offset1:160
	v_add_nc_u32_e32 v0, 0x1000, v19
	ds_store_2addr_b64 v0, v[155:156], v[10:11] offset0:88 offset1:208
	ds_store_2addr_b64 v132, v[8:9], v[6:7] offset0:72 offset1:192
	ds_store_2addr_b64 v133, v[137:138], v[159:160] offset0:24 offset1:144
	;; [unrolled: 1-line block ×3, first 2 shown]
	v_add_nc_u32_e32 v0, 0x5400, v19
	ds_store_2addr_b64 v0, v[145:146], v[149:150] offset0:72 offset1:192
	ds_store_2addr_b64 v135, v[147:148], v[175:176] offset0:56 offset1:176
	;; [unrolled: 1-line block ×7, first 2 shown]
	ds_store_b64 v19, v[167:168] offset:27840
	s_waitcnt lgkmcnt(0)
	s_barrier
	buffer_gl0_inv
	ds_load_2addr_b64 v[152:155], v192 offset0:80 offset1:200
	ds_load_2addr_b64 v[156:159], v186 offset0:32 offset1:152
	;; [unrolled: 1-line block ×9, first 2 shown]
	ds_load_2addr_b64 v[168:171], v19 offset1:120
	ds_load_2addr_b64 v[148:151], v247 offset0:96 offset1:216
	ds_load_2addr_b64 v[180:183], v18 offset0:48 offset1:168
	;; [unrolled: 1-line block ×5, first 2 shown]
	s_waitcnt lgkmcnt(0)
	s_barrier
	buffer_gl0_inv
	v_sub_f32_e32 v0, v152, v156
	v_sub_f32_e32 v1, v160, v164
	;; [unrolled: 1-line block ×6, first 2 shown]
	v_add_f32_e32 v192, v0, v1
	v_sub_f32_e32 v0, v153, v157
	v_sub_f32_e32 v1, v161, v165
	v_add_f32_e32 v7, v131, v135
	v_sub_f32_e32 v5, v153, v161
	v_dual_sub_f32 v191, v152, v160 :: v_dual_sub_f32 v12, v157, v165
	s_delay_alu instid0(VALU_DEP_4) | instskip(SKIP_4) | instid1(VALU_DEP_3)
	v_add_f32_e32 v216, v0, v1
	v_sub_f32_e32 v0, v134, v138
	v_sub_f32_e32 v1, v142, v146
	v_add_f32_e32 v9, v7, v139
	v_dual_add_f32 v7, v157, v165 :: v_dual_sub_f32 v4, v156, v164
	v_dual_add_f32 v189, v0, v1 :: v_dual_sub_f32 v0, v135, v139
	v_sub_f32_e32 v1, v143, v147
	s_delay_alu instid0(VALU_DEP_3) | instskip(NEXT) | instid1(VALU_DEP_2)
	v_fma_f32 v7, -0.5, v7, v169
	v_dual_add_f32 v9, v9, v147 :: v_dual_add_f32 v218, v0, v1
	v_add_f32_e32 v0, v139, v147
	s_delay_alu instid0(VALU_DEP_2) | instskip(NEXT) | instid1(VALU_DEP_2)
	v_add_f32_e32 v195, v9, v143
	v_fma_f32 v220, -0.5, v0, v131
	v_add_f32_e32 v0, v138, v146
	s_delay_alu instid0(VALU_DEP_1) | instskip(NEXT) | instid1(VALU_DEP_3)
	v_fma_f32 v1, -0.5, v0, v130
	v_fmamk_f32 v0, v224, 0x3f737871, v220
	v_fmac_f32_e32 v220, 0xbf737871, v224
	s_delay_alu instid0(VALU_DEP_3) | instskip(NEXT) | instid1(VALU_DEP_3)
	v_fmamk_f32 v2, v236, 0xbf737871, v1
	v_fmac_f32_e32 v0, 0x3f167918, v222
	v_fmac_f32_e32 v1, 0x3f737871, v236
	s_delay_alu instid0(VALU_DEP_4) | instskip(NEXT) | instid1(VALU_DEP_4)
	v_fmac_f32_e32 v220, 0xbf167918, v222
	v_fmac_f32_e32 v2, 0xbf167918, v13
	s_delay_alu instid0(VALU_DEP_4) | instskip(NEXT) | instid1(VALU_DEP_4)
	;; [unrolled: 3-line block ×4, first 2 shown]
	v_mul_f32_e32 v3, 0xbf167918, v0
	v_fmac_f32_e32 v1, 0x3e9e377a, v189
	s_delay_alu instid0(VALU_DEP_3) | instskip(NEXT) | instid1(VALU_DEP_3)
	v_mul_f32_e32 v226, 0x3f167918, v2
	v_dual_fmac_f32 v3, 0x3f4f1bbd, v2 :: v_dual_add_f32 v2, v169, v153
	s_delay_alu instid0(VALU_DEP_2) | instskip(SKIP_1) | instid1(VALU_DEP_3)
	v_fmac_f32_e32 v226, 0x3f4f1bbd, v0
	v_add_f32_e32 v0, v168, v152
	v_add_f32_e32 v6, v2, v157
	s_delay_alu instid0(VALU_DEP_2) | instskip(NEXT) | instid1(VALU_DEP_2)
	v_add_f32_e32 v0, v0, v156
	v_add_f32_e32 v8, v6, v165
	;; [unrolled: 1-line block ×3, first 2 shown]
	s_delay_alu instid0(VALU_DEP_3) | instskip(NEXT) | instid1(VALU_DEP_3)
	v_add_f32_e32 v0, v0, v164
	v_add_f32_e32 v14, v8, v161
	s_delay_alu instid0(VALU_DEP_3) | instskip(NEXT) | instid1(VALU_DEP_3)
	v_add_f32_e32 v6, v6, v138
	v_add_f32_e32 v188, v0, v160
	;; [unrolled: 1-line block ×3, first 2 shown]
	s_delay_alu instid0(VALU_DEP_3) | instskip(SKIP_2) | instid1(VALU_DEP_4)
	v_add_f32_e32 v10, v6, v146
	v_dual_fmamk_f32 v6, v191, 0x3f737871, v7 :: v_dual_add_f32 v9, v14, v195
	v_fmac_f32_e32 v7, 0xbf737871, v191
	v_fma_f32 v0, -0.5, v0, v168
	s_delay_alu instid0(VALU_DEP_4) | instskip(NEXT) | instid1(VALU_DEP_4)
	v_add_f32_e32 v190, v10, v142
	v_fmac_f32_e32 v6, 0x3f167918, v4
	s_delay_alu instid0(VALU_DEP_4) | instskip(NEXT) | instid1(VALU_DEP_4)
	v_fmac_f32_e32 v7, 0xbf167918, v4
	v_fmamk_f32 v2, v5, 0xbf737871, v0
	s_delay_alu instid0(VALU_DEP_4) | instskip(NEXT) | instid1(VALU_DEP_4)
	v_add_f32_e32 v8, v188, v190
	v_fmac_f32_e32 v6, 0x3e9e377a, v216
	v_fmac_f32_e32 v0, 0x3f737871, v5
	;; [unrolled: 1-line block ×3, first 2 shown]
	s_delay_alu instid0(VALU_DEP_3) | instskip(NEXT) | instid1(VALU_DEP_3)
	v_dual_fmac_f32 v2, 0xbf167918, v12 :: v_dual_add_f32 v11, v6, v226
	v_fmac_f32_e32 v0, 0x3f167918, v12
	s_delay_alu instid0(VALU_DEP_2) | instskip(NEXT) | instid1(VALU_DEP_2)
	v_fmac_f32_e32 v2, 0x3e9e377a, v192
	v_fmac_f32_e32 v0, 0x3e9e377a, v192
	s_delay_alu instid0(VALU_DEP_2)
	v_add_f32_e32 v10, v2, v3
	ds_store_b128 v217, v[8:11]
	v_sub_f32_e32 v8, v156, v152
	v_sub_f32_e32 v9, v164, v160
	;; [unrolled: 1-line block ×4, first 2 shown]
	s_delay_alu instid0(VALU_DEP_3) | instskip(SKIP_1) | instid1(VALU_DEP_1)
	v_add_f32_e32 v8, v8, v9
	v_add_f32_e32 v9, v152, v160
	v_fma_f32 v152, -0.5, v9, v168
	s_delay_alu instid0(VALU_DEP_1) | instskip(SKIP_2) | instid1(VALU_DEP_3)
	v_dual_sub_f32 v9, v165, v161 :: v_dual_fmamk_f32 v156, v12, 0x3f737871, v152
	v_fmac_f32_e32 v152, 0xbf737871, v12
	v_mul_f32_e32 v12, 0xbf4f1bbd, v220
	v_fmac_f32_e32 v156, 0xbf167918, v5
	s_delay_alu instid0(VALU_DEP_3) | instskip(SKIP_1) | instid1(VALU_DEP_4)
	v_fmac_f32_e32 v152, 0x3f167918, v5
	v_mul_f32_e32 v5, 0xbf167918, v220
	v_fmac_f32_e32 v12, 0x3f167918, v1
	s_delay_alu instid0(VALU_DEP_4) | instskip(NEXT) | instid1(VALU_DEP_4)
	v_fmac_f32_e32 v156, 0x3e9e377a, v8
	v_fmac_f32_e32 v152, 0x3e9e377a, v8
	v_sub_f32_e32 v8, v157, v153
	v_fmac_f32_e32 v5, 0xbf4f1bbd, v1
	v_sub_f32_e32 v1, v2, v3
	v_sub_f32_e32 v2, v6, v226
	v_add_f32_e32 v6, v159, v167
	v_add_f32_e32 v8, v8, v9
	;; [unrolled: 1-line block ×3, first 2 shown]
	s_delay_alu instid0(VALU_DEP_3) | instskip(NEXT) | instid1(VALU_DEP_2)
	v_fma_f32 v6, -0.5, v6, v171
	v_fma_f32 v153, -0.5, v9, v169
	v_dual_sub_f32 v9, v146, v142 :: v_dual_sub_f32 v146, v180, v172
	v_add_nc_u32_e32 v169, 0x4000, v19
	s_delay_alu instid0(VALU_DEP_3) | instskip(SKIP_1) | instid1(VALU_DEP_2)
	v_fmamk_f32 v157, v4, 0xbf737871, v153
	v_fmac_f32_e32 v153, 0x3f737871, v4
	v_fmac_f32_e32 v157, 0x3f167918, v191
	s_delay_alu instid0(VALU_DEP_2) | instskip(NEXT) | instid1(VALU_DEP_2)
	v_fmac_f32_e32 v153, 0xbf167918, v191
	v_fmac_f32_e32 v157, 0x3e9e377a, v8
	s_delay_alu instid0(VALU_DEP_2) | instskip(NEXT) | instid1(VALU_DEP_1)
	v_dual_fmac_f32 v153, 0x3e9e377a, v8 :: v_dual_sub_f32 v8, v138, v134
	v_dual_add_f32 v8, v8, v9 :: v_dual_add_f32 v9, v134, v142
	s_delay_alu instid0(VALU_DEP_1) | instskip(NEXT) | instid1(VALU_DEP_1)
	v_fma_f32 v9, -0.5, v9, v130
	v_fmamk_f32 v10, v13, 0x3f737871, v9
	v_fmac_f32_e32 v9, 0xbf737871, v13
	s_delay_alu instid0(VALU_DEP_2) | instskip(NEXT) | instid1(VALU_DEP_2)
	v_dual_add_f32 v13, v155, v163 :: v_dual_fmac_f32 v10, 0xbf167918, v236
	v_fmac_f32_e32 v9, 0x3f167918, v236
	s_delay_alu instid0(VALU_DEP_2) | instskip(NEXT) | instid1(VALU_DEP_2)
	v_fmac_f32_e32 v10, 0x3e9e377a, v8
	v_dual_fmac_f32 v9, 0x3e9e377a, v8 :: v_dual_sub_f32 v8, v139, v135
	s_delay_alu instid0(VALU_DEP_1) | instskip(SKIP_1) | instid1(VALU_DEP_1)
	v_add_f32_e32 v8, v8, v11
	v_add_f32_e32 v11, v135, v143
	v_fma_f32 v11, -0.5, v11, v131
	s_delay_alu instid0(VALU_DEP_1) | instskip(SKIP_1) | instid1(VALU_DEP_2)
	v_fmamk_f32 v130, v222, 0xbf737871, v11
	v_fmac_f32_e32 v11, 0x3f737871, v222
	v_fmac_f32_e32 v130, 0x3f167918, v224
	s_delay_alu instid0(VALU_DEP_2) | instskip(NEXT) | instid1(VALU_DEP_2)
	v_fmac_f32_e32 v11, 0xbf167918, v224
	v_fmac_f32_e32 v130, 0x3e9e377a, v8
	s_delay_alu instid0(VALU_DEP_2) | instskip(NEXT) | instid1(VALU_DEP_2)
	v_fmac_f32_e32 v11, 0x3e9e377a, v8
	v_mul_f32_e32 v131, 0xbf737871, v130
	v_mul_f32_e32 v130, 0x3e9e377a, v130
	s_delay_alu instid0(VALU_DEP_3) | instskip(SKIP_1) | instid1(VALU_DEP_4)
	v_mul_f32_e32 v134, 0xbf737871, v11
	v_mul_f32_e32 v135, 0xbe9e377a, v11
	v_fmac_f32_e32 v131, 0x3e9e377a, v10
	s_delay_alu instid0(VALU_DEP_4) | instskip(NEXT) | instid1(VALU_DEP_4)
	v_fmac_f32_e32 v130, 0x3f737871, v10
	v_fmac_f32_e32 v134, 0xbe9e377a, v9
	s_delay_alu instid0(VALU_DEP_3) | instskip(NEXT) | instid1(VALU_DEP_3)
	v_dual_fmac_f32 v135, 0x3f737871, v9 :: v_dual_add_f32 v8, v156, v131
	v_add_f32_e32 v9, v157, v130
	s_delay_alu instid0(VALU_DEP_2)
	v_dual_add_f32 v10, v152, v134 :: v_dual_add_f32 v11, v153, v135
	v_dual_sub_f32 v3, v156, v131 :: v_dual_sub_f32 v4, v157, v130
	v_dual_sub_f32 v131, v163, v167 :: v_dual_sub_f32 v130, v166, v162
	ds_store_b128 v217, v[8:11] offset:16
	v_dual_sub_f32 v10, v188, v190 :: v_dual_sub_f32 v11, v14, v195
	v_dual_add_f32 v8, v0, v5 :: v_dual_add_f32 v9, v7, v12
	ds_store_b128 v217, v[1:4] offset:48
	v_sub_f32_e32 v1, v152, v134
	v_dual_sub_f32 v3, v0, v5 :: v_dual_sub_f32 v2, v153, v135
	v_sub_f32_e32 v4, v7, v12
	ds_store_b128 v217, v[8:11] offset:32
	v_add_f32_e32 v0, v170, v154
	v_sub_f32_e32 v8, v155, v159
	v_sub_f32_e32 v152, v181, v173
	ds_store_b128 v217, v[1:4] offset:64
	v_dual_add_f32 v1, v171, v155 :: v_dual_add_f32 v0, v0, v158
	v_dual_add_f32 v8, v8, v131 :: v_dual_sub_f32 v153, v185, v177
	s_delay_alu instid0(VALU_DEP_2) | instskip(NEXT) | instid1(VALU_DEP_3)
	v_dual_add_f32 v2, v158, v166 :: v_dual_add_f32 v1, v1, v159
	v_add_f32_e32 v0, v0, v166
	v_sub_f32_e32 v3, v154, v158
	v_sub_f32_e32 v5, v158, v154
	v_sub_f32_e32 v9, v159, v155
	v_add_f32_e32 v1, v1, v167
	v_add_f32_e32 v135, v0, v162
	v_sub_f32_e32 v0, v180, v184
	v_dual_sub_f32 v10, v155, v163 :: v_dual_add_f32 v11, v154, v162
	s_delay_alu instid0(VALU_DEP_4) | instskip(SKIP_3) | instid1(VALU_DEP_4)
	v_dual_add_f32 v138, v1, v163 :: v_dual_sub_f32 v1, v172, v176
	v_sub_f32_e32 v12, v154, v162
	v_fma_f32 v156, -0.5, v2, v170
	v_dual_sub_f32 v4, v159, v167 :: v_dual_sub_f32 v7, v158, v166
	v_add_f32_e32 v131, v0, v1
	v_sub_f32_e32 v0, v181, v185
	v_dual_sub_f32 v1, v173, v177 :: v_dual_sub_f32 v14, v162, v166
	v_fmamk_f32 v157, v10, 0xbf737871, v156
	v_fmamk_f32 v158, v12, 0x3f737871, v6
	s_delay_alu instid0(VALU_DEP_3) | instskip(SKIP_1) | instid1(VALU_DEP_4)
	v_dual_sub_f32 v134, v167, v163 :: v_dual_add_f32 v139, v0, v1
	v_add_f32_e32 v0, v185, v177
	v_dual_add_f32 v14, v3, v14 :: v_dual_fmac_f32 v157, 0xbf167918, v4
	s_delay_alu instid0(VALU_DEP_4) | instskip(NEXT) | instid1(VALU_DEP_3)
	v_dual_fmac_f32 v158, 0x3f167918, v7 :: v_dual_fmac_f32 v171, -0.5, v13
	v_fma_f32 v142, -0.5, v0, v149
	s_delay_alu instid0(VALU_DEP_3) | instskip(NEXT) | instid1(VALU_DEP_3)
	v_dual_add_f32 v0, v184, v176 :: v_dual_fmac_f32 v157, 0x3e9e377a, v14
	v_fmac_f32_e32 v158, 0x3e9e377a, v8
	v_fmac_f32_e32 v156, 0x3f737871, v10
	;; [unrolled: 1-line block ×3, first 2 shown]
	s_delay_alu instid0(VALU_DEP_4)
	v_fma_f32 v143, -0.5, v0, v148
	v_fmamk_f32 v0, v146, 0x3f737871, v142
	v_fmac_f32_e32 v142, 0xbf737871, v146
	v_fmac_f32_e32 v156, 0x3f167918, v4
	;; [unrolled: 1-line block ×3, first 2 shown]
	v_fmamk_f32 v1, v152, 0xbf737871, v143
	v_fmac_f32_e32 v0, 0x3f167918, v147
	v_fmac_f32_e32 v142, 0xbf167918, v147
	;; [unrolled: 1-line block ×7, first 2 shown]
	v_add_f32_e32 v139, v187, v179
	v_fmac_f32_e32 v143, 0x3f167918, v153
	v_fmac_f32_e32 v1, 0x3e9e377a, v131
	v_mul_f32_e32 v154, 0xbf167918, v0
	v_fmac_f32_e32 v6, 0x3e9e377a, v8
	v_fma_f32 v139, -0.5, v139, v151
	v_fmac_f32_e32 v143, 0x3e9e377a, v131
	v_mul_f32_e32 v155, 0x3f167918, v1
	v_fmac_f32_e32 v154, 0x3f4f1bbd, v1
	v_add_f32_e32 v1, v149, v181
	v_dual_sub_f32 v8, v133, v137 :: v_dual_add_nc_u32 v167, 0x2c00, v19
	s_delay_alu instid0(VALU_DEP_4) | instskip(NEXT) | instid1(VALU_DEP_3)
	v_fmac_f32_e32 v155, 0x3f4f1bbd, v0
	v_dual_add_f32 v0, v148, v180 :: v_dual_add_f32 v1, v1, v185
	v_add_f32_e32 v2, v157, v154
	v_sub_f32_e32 v131, v141, v145
	s_delay_alu instid0(VALU_DEP_3) | instskip(NEXT) | instid1(VALU_DEP_4)
	v_dual_add_f32 v3, v158, v155 :: v_dual_add_f32 v0, v0, v184
	v_dual_add_f32 v1, v1, v177 :: v_dual_sub_f32 v14, v140, v144
	v_add_nc_u32_e32 v166, 0x1400, v19
	s_delay_alu instid0(VALU_DEP_3) | instskip(NEXT) | instid1(VALU_DEP_1)
	v_add_f32_e32 v0, v0, v176
	v_dual_add_f32 v160, v1, v173 :: v_dual_add_f32 v159, v0, v172
	s_delay_alu instid0(VALU_DEP_1)
	v_dual_add_f32 v1, v138, v160 :: v_dual_add_f32 v0, v135, v159
	ds_store_b128 v219, v[0:3]
	v_add_f32_e32 v0, v5, v130
	v_fma_f32 v5, -0.5, v11, v170
	v_sub_f32_e32 v1, v176, v172
	v_dual_sub_f32 v3, v177, v173 :: v_dual_add_nc_u32 v170, 0x5800, v19
	s_delay_alu instid0(VALU_DEP_3) | instskip(SKIP_2) | instid1(VALU_DEP_3)
	v_fmamk_f32 v11, v4, 0x3f737871, v5
	v_fmac_f32_e32 v5, 0xbf737871, v4
	v_mul_f32_e32 v4, 0xbf167918, v142
	v_fmac_f32_e32 v11, 0xbf167918, v10
	s_delay_alu instid0(VALU_DEP_3) | instskip(NEXT) | instid1(VALU_DEP_3)
	v_dual_fmac_f32 v5, 0x3f167918, v10 :: v_dual_sub_f32 v10, v133, v141
	v_fmac_f32_e32 v4, 0xbf4f1bbd, v143
	s_delay_alu instid0(VALU_DEP_3) | instskip(NEXT) | instid1(VALU_DEP_3)
	v_fmac_f32_e32 v11, 0x3e9e377a, v0
	v_dual_fmac_f32 v5, 0x3e9e377a, v0 :: v_dual_add_f32 v0, v9, v134
	v_fmamk_f32 v9, v7, 0xbf737871, v171
	v_fmac_f32_e32 v171, 0x3f737871, v7
	v_dual_mul_f32 v7, 0xbf4f1bbd, v142 :: v_dual_sub_f32 v142, v187, v183
	s_delay_alu instid0(VALU_DEP_3) | instskip(NEXT) | instid1(VALU_DEP_3)
	v_fmac_f32_e32 v9, 0x3f167918, v12
	v_fmac_f32_e32 v171, 0xbf167918, v12
	s_delay_alu instid0(VALU_DEP_3) | instskip(SKIP_1) | instid1(VALU_DEP_4)
	v_dual_fmac_f32 v7, 0x3f167918, v143 :: v_dual_sub_f32 v12, v132, v140
	v_sub_f32_e32 v143, v183, v175
	v_fmac_f32_e32 v9, 0x3e9e377a, v0
	s_delay_alu instid0(VALU_DEP_4) | instskip(SKIP_1) | instid1(VALU_DEP_1)
	v_fmac_f32_e32 v171, 0x3e9e377a, v0
	v_sub_f32_e32 v0, v184, v180
	v_add_f32_e32 v0, v0, v1
	v_dual_add_f32 v1, v180, v172 :: v_dual_add_nc_u32 v172, 0x3400, v19
	s_delay_alu instid0(VALU_DEP_1) | instskip(NEXT) | instid1(VALU_DEP_1)
	v_fma_f32 v1, -0.5, v1, v148
	v_fmamk_f32 v2, v153, 0x3f737871, v1
	v_fmac_f32_e32 v1, 0xbf737871, v153
	s_delay_alu instid0(VALU_DEP_2) | instskip(NEXT) | instid1(VALU_DEP_2)
	v_fmac_f32_e32 v2, 0xbf167918, v152
	v_dual_fmac_f32 v1, 0x3f167918, v152 :: v_dual_sub_f32 v152, v179, v175
	s_delay_alu instid0(VALU_DEP_2) | instskip(NEXT) | instid1(VALU_DEP_2)
	v_fmac_f32_e32 v2, 0x3e9e377a, v0
	v_dual_fmac_f32 v1, 0x3e9e377a, v0 :: v_dual_sub_f32 v0, v185, v181
	s_delay_alu instid0(VALU_DEP_1) | instskip(SKIP_1) | instid1(VALU_DEP_2)
	v_dual_add_f32 v0, v0, v3 :: v_dual_add_f32 v3, v181, v173
	v_add_nc_u32_e32 v173, 0x4800, v19
	v_fma_f32 v3, -0.5, v3, v149
	v_sub_f32_e32 v149, v175, v179
	s_delay_alu instid0(VALU_DEP_2) | instskip(SKIP_2) | instid1(VALU_DEP_3)
	v_fmamk_f32 v13, v147, 0xbf737871, v3
	v_fmac_f32_e32 v3, 0x3f737871, v147
	v_sub_f32_e32 v147, v174, v178
	v_fmac_f32_e32 v13, 0x3f167918, v146
	s_delay_alu instid0(VALU_DEP_3) | instskip(NEXT) | instid1(VALU_DEP_2)
	v_dual_fmac_f32 v3, 0xbf167918, v146 :: v_dual_add_f32 v146, v183, v175
	v_fmac_f32_e32 v13, 0x3e9e377a, v0
	s_delay_alu instid0(VALU_DEP_2) | instskip(NEXT) | instid1(VALU_DEP_2)
	v_fmac_f32_e32 v3, 0x3e9e377a, v0
	v_mul_f32_e32 v130, 0xbf737871, v13
	v_mul_f32_e32 v13, 0x3e9e377a, v13
	s_delay_alu instid0(VALU_DEP_3) | instskip(SKIP_1) | instid1(VALU_DEP_4)
	v_mul_f32_e32 v134, 0xbf737871, v3
	v_mul_f32_e32 v148, 0xbe9e377a, v3
	v_fmac_f32_e32 v130, 0x3e9e377a, v2
	s_delay_alu instid0(VALU_DEP_4) | instskip(NEXT) | instid1(VALU_DEP_4)
	v_fmac_f32_e32 v13, 0x3f737871, v2
	v_fmac_f32_e32 v134, 0xbe9e377a, v1
	s_delay_alu instid0(VALU_DEP_4) | instskip(NEXT) | instid1(VALU_DEP_3)
	v_fmac_f32_e32 v148, 0x3f737871, v1
	v_dual_add_f32 v0, v11, v130 :: v_dual_add_f32 v1, v9, v13
	s_delay_alu instid0(VALU_DEP_2)
	v_dual_add_f32 v2, v5, v134 :: v_dual_add_f32 v3, v171, v148
	ds_store_b128 v219, v[0:3] offset:16
	v_dual_sub_f32 v2, v135, v159 :: v_dual_sub_f32 v3, v138, v160
	v_dual_add_f32 v0, v156, v4 :: v_dual_add_f32 v1, v6, v7
	v_add_f32_e32 v135, v186, v178
	v_sub_f32_e32 v138, v186, v182
	ds_store_b128 v219, v[0:3] offset:32
	v_sub_f32_e32 v0, v157, v154
	v_dual_sub_f32 v2, v11, v130 :: v_dual_sub_f32 v1, v158, v155
	v_sub_f32_e32 v3, v9, v13
	v_sub_f32_e32 v9, v137, v133
	v_add_f32_e32 v13, v133, v141
	v_add_f32_e32 v11, v132, v140
	v_fma_f32 v135, -0.5, v135, v150
	ds_store_b128 v219, v[0:3] offset:48
	v_dual_sub_f32 v1, v171, v148 :: v_dual_sub_f32 v0, v5, v134
	v_dual_sub_f32 v2, v156, v4 :: v_dual_sub_f32 v3, v6, v7
	;; [unrolled: 1-line block ×3, first 2 shown]
	v_dual_add_f32 v6, v137, v145 :: v_dual_sub_f32 v7, v136, v144
	ds_store_b128 v219, v[0:3] offset:64
	v_dual_add_f32 v0, v128, v132 :: v_dual_add_f32 v1, v129, v133
	v_dual_sub_f32 v3, v132, v136 :: v_dual_sub_f32 v132, v145, v141
	v_add_f32_e32 v2, v136, v144
	s_delay_alu instid0(VALU_DEP_3) | instskip(SKIP_2) | instid1(VALU_DEP_3)
	v_dual_add_f32 v0, v0, v136 :: v_dual_add_f32 v1, v1, v137
	v_sub_f32_e32 v130, v144, v140
	v_dual_sub_f32 v136, v187, v179 :: v_dual_sub_f32 v137, v182, v186
	v_dual_add_f32 v0, v0, v144 :: v_dual_add_f32 v1, v1, v145
	v_sub_f32_e32 v145, v182, v174
	v_fma_f32 v6, -0.5, v6, v129
	v_add_nc_u32_e32 v171, 0x1c00, v19
	s_delay_alu instid0(VALU_DEP_4) | instskip(SKIP_3) | instid1(VALU_DEP_3)
	v_dual_add_f32 v133, v0, v140 :: v_dual_add_f32 v134, v1, v141
	v_dual_add_f32 v0, v150, v182 :: v_dual_add_f32 v1, v151, v183
	v_dual_sub_f32 v140, v186, v178 :: v_dual_sub_f32 v141, v183, v187
	v_add_f32_e32 v8, v8, v131
	v_dual_add_f32 v0, v0, v186 :: v_dual_add_f32 v1, v1, v187
	v_add_f32_e32 v131, v137, v147
	s_delay_alu instid0(VALU_DEP_4) | instskip(SKIP_1) | instid1(VALU_DEP_4)
	v_add_f32_e32 v137, v141, v149
	v_fma_f32 v149, -0.5, v2, v128
	v_dual_add_f32 v0, v0, v178 :: v_dual_add_f32 v1, v1, v179
	v_fmamk_f32 v156, v12, 0x3f737871, v6
	s_delay_alu instid0(VALU_DEP_3) | instskip(NEXT) | instid1(VALU_DEP_3)
	v_dual_add_f32 v14, v3, v14 :: v_dual_fmamk_f32 v155, v10, 0xbf737871, v149
	v_dual_add_f32 v153, v0, v174 :: v_dual_add_f32 v154, v1, v175
	v_fmamk_f32 v0, v145, 0x3f737871, v139
	v_fmamk_f32 v1, v143, 0xbf737871, v135
	s_delay_alu instid0(VALU_DEP_4) | instskip(SKIP_1) | instid1(VALU_DEP_4)
	v_fmac_f32_e32 v155, 0xbf167918, v4
	v_dual_fmac_f32 v156, 0x3f167918, v7 :: v_dual_fmac_f32 v151, -0.5, v146
	v_fmac_f32_e32 v0, 0x3f167918, v140
	s_delay_alu instid0(VALU_DEP_4) | instskip(NEXT) | instid1(VALU_DEP_3)
	v_fmac_f32_e32 v1, 0xbf167918, v136
	v_dual_fmac_f32 v155, 0x3e9e377a, v14 :: v_dual_fmac_f32 v156, 0x3e9e377a, v8
	v_add_f32_e32 v144, v182, v174
	s_delay_alu instid0(VALU_DEP_3) | instskip(SKIP_2) | instid1(VALU_DEP_3)
	v_dual_fmac_f32 v0, 0x3e9e377a, v137 :: v_dual_fmac_f32 v1, 0x3e9e377a, v131
	v_dual_fmac_f32 v129, -0.5, v13 :: v_dual_sub_f32 v148, v178, v174
	v_fmac_f32_e32 v139, 0xbf737871, v145
	v_mul_f32_e32 v141, 0xbf167918, v0
	s_delay_alu instid0(VALU_DEP_4)
	v_mul_f32_e32 v147, 0x3f167918, v1
	v_fmac_f32_e32 v135, 0x3f737871, v143
	v_fmac_f32_e32 v149, 0x3f737871, v10
	;; [unrolled: 1-line block ×4, first 2 shown]
	v_dual_fmac_f32 v147, 0x3f4f1bbd, v0 :: v_dual_add_f32 v0, v133, v153
	v_dual_add_f32 v1, v134, v154 :: v_dual_fmac_f32 v6, 0xbf737871, v12
	s_delay_alu instid0(VALU_DEP_2)
	v_dual_add_f32 v2, v155, v141 :: v_dual_add_f32 v3, v156, v147
	v_fmac_f32_e32 v135, 0x3f167918, v136
	v_fmac_f32_e32 v139, 0x3e9e377a, v137
	;; [unrolled: 1-line block ×4, first 2 shown]
	ds_store_b128 v235, v[0:3]
	v_add_f32_e32 v3, v5, v130
	v_fma_f32 v5, -0.5, v11, v128
	v_fmamk_f32 v1, v140, 0xbf737871, v151
	v_fmac_f32_e32 v151, 0x3f737871, v140
	v_add_f32_e32 v0, v142, v152
	v_fma_f32 v2, -0.5, v144, v150
	v_fmamk_f32 v11, v4, 0x3f737871, v5
	v_fmac_f32_e32 v5, 0xbf737871, v4
	v_fmac_f32_e32 v151, 0xbf167918, v145
	;; [unrolled: 1-line block ×8, first 2 shown]
	v_fmamk_f32 v0, v136, 0x3f737871, v2
	v_fmac_f32_e32 v11, 0x3e9e377a, v3
	v_fmac_f32_e32 v5, 0x3e9e377a, v3
	v_add_f32_e32 v3, v9, v132
	v_fmamk_f32 v9, v7, 0xbf737871, v129
	v_fmac_f32_e32 v129, 0x3f737871, v7
	v_fmac_f32_e32 v2, 0xbf737871, v136
	;; [unrolled: 1-line block ×3, first 2 shown]
	v_mul_f32_e32 v142, 0xbf737871, v151
	v_fmac_f32_e32 v9, 0x3f167918, v12
	v_fmac_f32_e32 v129, 0xbf167918, v12
	;; [unrolled: 1-line block ×3, first 2 shown]
	v_mul_f32_e32 v144, 0xbe9e377a, v151
	v_mul_f32_e32 v13, 0xbf737871, v1
	v_fmac_f32_e32 v9, 0x3e9e377a, v3
	v_fmac_f32_e32 v129, 0x3e9e377a, v3
	v_dual_add_f32 v3, v138, v148 :: v_dual_mul_f32 v128, 0x3e9e377a, v1
	v_mul_f32_e32 v4, 0xbf167918, v139
	v_mul_f32_e32 v7, 0xbf4f1bbd, v139
	s_delay_alu instid0(VALU_DEP_3)
	v_dual_fmac_f32 v149, 0x3e9e377a, v14 :: v_dual_fmac_f32 v0, 0x3e9e377a, v3
	v_fmac_f32_e32 v2, 0x3e9e377a, v3
	v_fmac_f32_e32 v6, 0x3e9e377a, v8
	;; [unrolled: 1-line block ×8, first 2 shown]
	v_mov_b32_e32 v178, v18
	s_delay_alu instid0(VALU_DEP_4) | instskip(NEXT) | instid1(VALU_DEP_4)
	v_dual_add_f32 v0, v11, v13 :: v_dual_add_f32 v1, v9, v128
	v_add_f32_e32 v2, v5, v142
	s_delay_alu instid0(VALU_DEP_4)
	v_add_f32_e32 v3, v129, v144
	v_mov_b32_e32 v175, v17
	v_mov_b32_e32 v179, v15
	ds_store_b128 v235, v[0:3] offset:16
	v_dual_sub_f32 v2, v133, v153 :: v_dual_sub_f32 v3, v134, v154
	v_dual_add_f32 v0, v149, v4 :: v_dual_add_f32 v1, v6, v7
	ds_store_b128 v235, v[0:3] offset:32
	v_sub_f32_e32 v0, v155, v141
	v_dual_sub_f32 v2, v11, v13 :: v_dual_sub_f32 v1, v156, v147
	v_sub_f32_e32 v3, v9, v128
	ds_store_b128 v235, v[0:3] offset:48
	v_sub_f32_e32 v1, v129, v144
	v_sub_f32_e32 v0, v5, v142
	v_dual_sub_f32 v2, v149, v4 :: v_dual_sub_f32 v3, v6, v7
	ds_store_b128 v235, v[0:3] offset:64
	s_waitcnt lgkmcnt(0)
	s_barrier
	buffer_gl0_inv
	ds_load_2addr_b64 v[0:3], v15 offset0:32 offset1:152
	s_waitcnt lgkmcnt(0)
	v_dual_mul_f32 v129, v254, v1 :: v_dual_mul_f32 v14, v244, v3
	s_delay_alu instid0(VALU_DEP_1) | instskip(SKIP_1) | instid1(VALU_DEP_3)
	v_fmac_f32_e32 v129, v253, v0
	v_mul_f32_e32 v0, v254, v0
	v_fmac_f32_e32 v14, v243, v2
	s_delay_alu instid0(VALU_DEP_2) | instskip(SKIP_1) | instid1(VALU_DEP_1)
	v_fma_f32 v130, v253, v1, -v0
	v_mul_f32_e32 v0, v244, v2
	v_fma_f32 v128, v243, v3, -v0
	ds_load_2addr_b64 v[0:3], v248 offset0:48 offset1:168
	s_waitcnt lgkmcnt(0)
	v_mul_f32_e32 v133, v246, v3
	v_mul_f32_e32 v13, v71, v1
	s_delay_alu instid0(VALU_DEP_2) | instskip(SKIP_1) | instid1(VALU_DEP_3)
	v_fmac_f32_e32 v133, v245, v2
	v_mul_f32_e32 v2, v246, v2
	v_fmac_f32_e32 v13, v70, v0
	v_mul_f32_e32 v0, v71, v0
	s_delay_alu instid0(VALU_DEP_3) | instskip(NEXT) | instid1(VALU_DEP_2)
	v_fma_f32 v131, v245, v3, -v2
	v_fma_f32 v71, v70, v1, -v0
	ds_load_2addr_b64 v[0:3], v16 offset0:80 offset1:200
	s_waitcnt lgkmcnt(0)
	v_mul_f32_e32 v70, v69, v3
	s_delay_alu instid0(VALU_DEP_1) | instskip(SKIP_2) | instid1(VALU_DEP_2)
	v_fmac_f32_e32 v70, v68, v2
	v_mul_f32_e32 v2, v69, v2
	v_mul_f32_e32 v69, v37, v1
	v_fma_f32 v68, v68, v3, -v2
	s_delay_alu instid0(VALU_DEP_2) | instskip(SKIP_1) | instid1(VALU_DEP_1)
	v_fmac_f32_e32 v69, v36, v0
	v_mul_f32_e32 v0, v37, v0
	v_fma_f32 v37, v36, v1, -v0
	ds_load_2addr_b64 v[0:3], v170 offset0:64 offset1:184
	s_waitcnt lgkmcnt(0)
	v_mul_f32_e32 v36, v39, v3
	v_mul_f32_e32 v138, v35, v1
	s_delay_alu instid0(VALU_DEP_2) | instskip(SKIP_1) | instid1(VALU_DEP_3)
	v_fmac_f32_e32 v36, v38, v2
	v_mul_f32_e32 v2, v39, v2
	v_fmac_f32_e32 v138, v34, v0
	v_mul_f32_e32 v0, v35, v0
	s_delay_alu instid0(VALU_DEP_3) | instskip(NEXT) | instid1(VALU_DEP_2)
	v_fma_f32 v38, v38, v3, -v2
	v_fma_f32 v136, v34, v1, -v0
	ds_load_2addr_b64 v[0:3], v173 offset0:96 offset1:216
	s_waitcnt lgkmcnt(0)
	v_mul_f32_e32 v135, v33, v3
	s_delay_alu instid0(VALU_DEP_1) | instskip(SKIP_1) | instid1(VALU_DEP_1)
	v_fmac_f32_e32 v135, v32, v2
	v_mul_f32_e32 v2, v33, v2
	v_fma_f32 v134, v32, v3, -v2
	v_mul_f32_e32 v32, v55, v1
	s_delay_alu instid0(VALU_DEP_1) | instskip(SKIP_1) | instid1(VALU_DEP_1)
	v_fmac_f32_e32 v32, v54, v0
	v_mul_f32_e32 v0, v55, v0
	v_fma_f32 v33, v54, v1, -v0
	ds_load_2addr_b64 v[0:3], v17 offset0:128 offset1:248
	s_waitcnt lgkmcnt(0)
	v_mul_f32_e32 v34, v53, v3
	s_delay_alu instid0(VALU_DEP_1) | instskip(NEXT) | instid1(VALU_DEP_1)
	v_dual_mul_f32 v39, v29, v1 :: v_dual_fmac_f32 v34, v52, v2
	v_dual_mul_f32 v2, v53, v2 :: v_dual_fmac_f32 v39, v28, v0
	v_mul_f32_e32 v0, v29, v0
	s_delay_alu instid0(VALU_DEP_2) | instskip(NEXT) | instid1(VALU_DEP_2)
	v_fma_f32 v35, v52, v3, -v2
	v_fma_f32 v29, v28, v1, -v0
	ds_load_2addr_b64 v[0:3], v169 offset0:112 offset1:232
	s_waitcnt lgkmcnt(0)
	v_mul_f32_e32 v28, v31, v3
	s_delay_alu instid0(VALU_DEP_1) | instskip(SKIP_1) | instid1(VALU_DEP_1)
	v_fmac_f32_e32 v28, v30, v2
	v_mul_f32_e32 v2, v31, v2
	v_fma_f32 v30, v30, v3, -v2
	v_mul_f32_e32 v142, v23, v1
	s_delay_alu instid0(VALU_DEP_1) | instskip(SKIP_1) | instid1(VALU_DEP_1)
	v_fmac_f32_e32 v142, v22, v0
	v_mul_f32_e32 v0, v23, v0
	v_fma_f32 v141, v22, v1, -v0
	ds_load_2addr_b64 v[0:3], v172 offset0:16 offset1:136
	s_waitcnt lgkmcnt(0)
	v_mul_f32_e32 v140, v21, v3
	s_delay_alu instid0(VALU_DEP_1) | instskip(NEXT) | instid1(VALU_DEP_1)
	v_fmac_f32_e32 v140, v20, v2
	v_dual_mul_f32 v2, v21, v2 :: v_dual_sub_f32 v151, v140, v135
	s_delay_alu instid0(VALU_DEP_1) | instskip(SKIP_1) | instid1(VALU_DEP_2)
	v_fma_f32 v139, v20, v3, -v2
	v_mul_f32_e32 v20, v43, v1
	v_sub_f32_e32 v152, v139, v134
	s_delay_alu instid0(VALU_DEP_2) | instskip(SKIP_1) | instid1(VALU_DEP_1)
	v_fmac_f32_e32 v20, v42, v0
	v_mul_f32_e32 v0, v43, v0
	v_fma_f32 v23, v42, v1, -v0
	ds_load_2addr_b64 v[0:3], v18 offset0:48 offset1:168
	s_waitcnt lgkmcnt(0)
	v_mul_f32_e32 v21, v41, v3
	s_delay_alu instid0(VALU_DEP_1) | instskip(SKIP_1) | instid1(VALU_DEP_1)
	v_fmac_f32_e32 v21, v40, v2
	v_mul_f32_e32 v2, v41, v2
	v_fma_f32 v22, v40, v3, -v2
	v_mul_f32_e32 v40, v240, v1
	s_delay_alu instid0(VALU_DEP_1) | instskip(SKIP_1) | instid1(VALU_DEP_1)
	v_fmac_f32_e32 v40, v239, v0
	v_mul_f32_e32 v0, v240, v0
	v_fma_f32 v41, v239, v1, -v0
	ds_load_2addr_b64 v[0:3], v167 offset0:32 offset1:152
	s_waitcnt lgkmcnt(0)
	v_mul_f32_e32 v31, v242, v3
	v_mul_f32_e32 v155, v211, v1
	s_delay_alu instid0(VALU_DEP_2) | instskip(SKIP_1) | instid1(VALU_DEP_3)
	v_fmac_f32_e32 v31, v241, v2
	v_mul_f32_e32 v2, v242, v2
	v_fmac_f32_e32 v155, v210, v0
	v_mul_f32_e32 v0, v211, v0
	s_delay_alu instid0(VALU_DEP_3) | instskip(NEXT) | instid1(VALU_DEP_3)
	v_fma_f32 v42, v241, v3, -v2
	v_sub_f32_e32 v161, v155, v142
	s_delay_alu instid0(VALU_DEP_3) | instskip(SKIP_4) | instid1(VALU_DEP_1)
	v_fma_f32 v150, v210, v1, -v0
	ds_load_2addr_b64 v[0:3], v171 offset0:64 offset1:184
	v_add_f32_e32 v12, v150, v141
	s_waitcnt lgkmcnt(0)
	v_dual_sub_f32 v158, v150, v141 :: v_dual_mul_f32 v149, v209, v3
	v_dual_mul_f32 v18, v27, v1 :: v_dual_fmac_f32 v149, v208, v2
	v_mul_f32_e32 v2, v209, v2
	s_delay_alu instid0(VALU_DEP_2) | instskip(NEXT) | instid1(VALU_DEP_3)
	v_fmac_f32_e32 v18, v26, v0
	v_dual_mul_f32 v0, v27, v0 :: v_dual_sub_f32 v153, v149, v133
	s_delay_alu instid0(VALU_DEP_3) | instskip(SKIP_1) | instid1(VALU_DEP_3)
	v_fma_f32 v143, v208, v3, -v2
	v_mov_b32_e32 v176, v16
	v_fma_f32 v8, v26, v1, -v0
	ds_load_2addr_b64 v[0:3], v247 offset0:96 offset1:216
	v_dual_add_f32 v15, v149, v133 :: v_dual_sub_f32 v154, v143, v131
	s_waitcnt lgkmcnt(0)
	v_mul_f32_e32 v16, v25, v3
	s_delay_alu instid0(VALU_DEP_1) | instskip(SKIP_1) | instid1(VALU_DEP_1)
	v_fmac_f32_e32 v16, v24, v2
	v_mul_f32_e32 v2, v25, v2
	v_fma_f32 v17, v24, v3, -v2
	v_mul_f32_e32 v24, v213, v1
	s_delay_alu instid0(VALU_DEP_1) | instskip(SKIP_1) | instid1(VALU_DEP_1)
	v_fmac_f32_e32 v24, v212, v0
	v_mul_f32_e32 v0, v213, v0
	v_fma_f32 v25, v212, v1, -v0
	ds_load_2addr_b64 v[0:3], v166 offset0:80 offset1:200
	s_waitcnt lgkmcnt(0)
	v_dual_mul_f32 v26, v215, v3 :: v_dual_mul_f32 v157, v252, v1
	s_delay_alu instid0(VALU_DEP_1) | instskip(SKIP_1) | instid1(VALU_DEP_3)
	v_fmac_f32_e32 v26, v214, v2
	v_mul_f32_e32 v2, v215, v2
	v_fmac_f32_e32 v157, v251, v0
	v_mul_f32_e32 v0, v252, v0
	s_delay_alu instid0(VALU_DEP_3) | instskip(SKIP_3) | instid1(VALU_DEP_2)
	v_fma_f32 v27, v214, v3, -v2
	ds_load_2addr_b64 v[2:5], v255 offset0:112 offset1:232
	v_fma_f32 v156, v251, v1, -v0
	v_sub_f32_e32 v1, v138, v142
	v_dual_sub_f32 v162, v157, v138 :: v_dual_sub_f32 v159, v156, v136
	s_waitcnt lgkmcnt(0)
	v_mul_f32_e32 v0, v250, v4
	v_mul_f32_e32 v145, v250, v5
	s_delay_alu instid0(VALU_DEP_2) | instskip(SKIP_1) | instid1(VALU_DEP_3)
	v_fma_f32 v148, v249, v5, -v0
	v_sub_f32_e32 v0, v157, v155
	v_fmac_f32_e32 v145, v249, v4
	s_delay_alu instid0(VALU_DEP_3) | instskip(NEXT) | instid1(VALU_DEP_3)
	v_add_f32_e32 v11, v148, v143
	v_add_f32_e32 v55, v0, v1
	v_sub_f32_e32 v0, v156, v150
	v_sub_f32_e32 v1, v136, v141
	s_delay_alu instid0(VALU_DEP_4) | instskip(NEXT) | instid1(VALU_DEP_2)
	v_dual_add_f32 v10, v145, v149 :: v_dual_add_f32 v11, v11, v139
	v_add_f32_e32 v132, v0, v1
	v_sub_f32_e32 v0, v149, v140
	s_delay_alu instid0(VALU_DEP_3) | instskip(NEXT) | instid1(VALU_DEP_4)
	v_dual_sub_f32 v1, v133, v135 :: v_dual_add_f32 v10, v10, v140
	v_add_f32_e32 v11, v11, v134
	s_delay_alu instid0(VALU_DEP_2) | instskip(NEXT) | instid1(VALU_DEP_3)
	v_dual_add_f32 v137, v0, v1 :: v_dual_sub_f32 v0, v143, v139
	v_dual_sub_f32 v1, v131, v134 :: v_dual_add_f32 v10, v10, v135
	s_delay_alu instid0(VALU_DEP_3) | instskip(NEXT) | instid1(VALU_DEP_2)
	v_add_f32_e32 v165, v11, v131
	v_add_f32_e32 v147, v0, v1
	;; [unrolled: 1-line block ×3, first 2 shown]
	s_delay_alu instid0(VALU_DEP_4) | instskip(SKIP_1) | instid1(VALU_DEP_3)
	v_add_f32_e32 v164, v10, v133
	v_sub_f32_e32 v133, v135, v133
	v_fma_f32 v144, -0.5, v0, v145
	v_dual_add_f32 v0, v139, v134 :: v_dual_fmac_f32 v145, -0.5, v15
	s_delay_alu instid0(VALU_DEP_2) | instskip(NEXT) | instid1(VALU_DEP_2)
	v_fmamk_f32 v4, v154, 0xbf737871, v144
	v_fma_f32 v146, -0.5, v0, v148
	v_fmac_f32_e32 v144, 0x3f737871, v154
	s_delay_alu instid0(VALU_DEP_3) | instskip(NEXT) | instid1(VALU_DEP_3)
	v_fmac_f32_e32 v4, 0xbf167918, v152
	v_fmamk_f32 v1, v153, 0x3f737871, v146
	v_fmac_f32_e32 v146, 0xbf737871, v153
	s_delay_alu instid0(VALU_DEP_4) | instskip(NEXT) | instid1(VALU_DEP_4)
	v_fmac_f32_e32 v144, 0x3f167918, v152
	v_fmac_f32_e32 v4, 0x3e9e377a, v137
	s_delay_alu instid0(VALU_DEP_4) | instskip(NEXT) | instid1(VALU_DEP_4)
	v_fmac_f32_e32 v1, 0x3f167918, v151
	v_fmac_f32_e32 v146, 0xbf167918, v151
	s_delay_alu instid0(VALU_DEP_2) | instskip(NEXT) | instid1(VALU_DEP_2)
	v_fmac_f32_e32 v1, 0x3e9e377a, v147
	v_fmac_f32_e32 v146, 0x3e9e377a, v147
	s_delay_alu instid0(VALU_DEP_2) | instskip(NEXT) | instid1(VALU_DEP_1)
	v_mul_f32_e32 v0, 0xbf167918, v1
	v_dual_mul_f32 v43, 0x3f4f1bbd, v1 :: v_dual_fmac_f32 v0, 0x3f4f1bbd, v4
	s_delay_alu instid0(VALU_DEP_1)
	v_fmac_f32_e32 v43, 0x3f167918, v4
	ds_load_2addr_b64 v[4:7], v19 offset1:120
	s_waitcnt lgkmcnt(0)
	s_barrier
	buffer_gl0_inv
	v_add_f32_e32 v1, v4, v157
	v_add_f32_e32 v9, v5, v156
	v_fma_f32 v52, -0.5, v12, v5
	s_delay_alu instid0(VALU_DEP_3) | instskip(NEXT) | instid1(VALU_DEP_2)
	v_add_f32_e32 v1, v1, v155
	v_dual_add_f32 v9, v9, v150 :: v_dual_fmamk_f32 v54, v162, 0x3f737871, v52
	v_fmac_f32_e32 v52, 0xbf737871, v162
	s_delay_alu instid0(VALU_DEP_3) | instskip(NEXT) | instid1(VALU_DEP_3)
	v_add_f32_e32 v1, v1, v142
	v_add_f32_e32 v9, v9, v141
	s_delay_alu instid0(VALU_DEP_4) | instskip(NEXT) | instid1(VALU_DEP_4)
	v_fmac_f32_e32 v54, 0x3f167918, v161
	v_fmac_f32_e32 v52, 0xbf167918, v161
	s_delay_alu instid0(VALU_DEP_4)
	v_add_f32_e32 v160, v1, v138
	v_add_f32_e32 v1, v155, v142
	;; [unrolled: 1-line block ×3, first 2 shown]
	v_fmac_f32_e32 v54, 0x3e9e377a, v132
	v_fmac_f32_e32 v52, 0x3e9e377a, v132
	v_add_f32_e32 v9, v160, v164
	v_fma_f32 v1, -0.5, v1, v4
	v_add_f32_e32 v10, v163, v165
	v_add_f32_e32 v12, v54, v43
	v_mul_f32_e32 v132, 0xbf4f1bbd, v146
	s_delay_alu instid0(VALU_DEP_4) | instskip(SKIP_1) | instid1(VALU_DEP_2)
	v_fmamk_f32 v53, v159, 0xbf737871, v1
	v_fmac_f32_e32 v1, 0x3f737871, v159
	v_fmac_f32_e32 v53, 0xbf167918, v158
	s_delay_alu instid0(VALU_DEP_2) | instskip(NEXT) | instid1(VALU_DEP_2)
	v_fmac_f32_e32 v1, 0x3f167918, v158
	v_fmac_f32_e32 v53, 0x3e9e377a, v55
	s_delay_alu instid0(VALU_DEP_2) | instskip(SKIP_1) | instid1(VALU_DEP_3)
	v_fmac_f32_e32 v1, 0x3e9e377a, v55
	v_mul_f32_e32 v55, 0xbf167918, v146
	v_add_f32_e32 v11, v53, v0
	ds_store_2addr_b64 v225, v[9:10], v[11:12] offset1:10
	v_add_f32_e32 v11, v157, v138
	v_dual_sub_f32 v9, v155, v157 :: v_dual_sub_f32 v10, v142, v138
	s_delay_alu instid0(VALU_DEP_2) | instskip(NEXT) | instid1(VALU_DEP_2)
	v_fma_f32 v11, -0.5, v11, v4
	v_dual_sub_f32 v4, v150, v156 :: v_dual_add_f32 v9, v9, v10
	v_add_f32_e32 v10, v156, v136
	s_delay_alu instid0(VALU_DEP_3) | instskip(SKIP_1) | instid1(VALU_DEP_3)
	v_fmamk_f32 v12, v158, 0x3f737871, v11
	v_fmac_f32_e32 v11, 0xbf737871, v158
	v_fma_f32 v135, -0.5, v10, v5
	v_add_f32_e32 v5, v143, v131
	s_delay_alu instid0(VALU_DEP_4) | instskip(NEXT) | instid1(VALU_DEP_4)
	v_fmac_f32_e32 v12, 0xbf167918, v159
	v_fmac_f32_e32 v11, 0x3f167918, v159
	v_fmamk_f32 v10, v152, 0x3f737871, v145
	s_delay_alu instid0(VALU_DEP_4) | instskip(NEXT) | instid1(VALU_DEP_4)
	v_dual_fmac_f32 v145, 0xbf737871, v152 :: v_dual_fmac_f32 v148, -0.5, v5
	v_fmac_f32_e32 v12, 0x3e9e377a, v9
	s_delay_alu instid0(VALU_DEP_4) | instskip(SKIP_4) | instid1(VALU_DEP_4)
	v_fmac_f32_e32 v11, 0x3e9e377a, v9
	v_sub_f32_e32 v9, v141, v136
	v_fmamk_f32 v136, v161, 0xbf737871, v135
	v_fmac_f32_e32 v135, 0x3f737871, v161
	v_dual_sub_f32 v5, v139, v143 :: v_dual_fmac_f32 v10, 0xbf167918, v154
	v_add_f32_e32 v4, v4, v9
	s_delay_alu instid0(VALU_DEP_4) | instskip(NEXT) | instid1(VALU_DEP_4)
	v_dual_sub_f32 v9, v140, v149 :: v_dual_fmac_f32 v136, 0x3f167918, v162
	v_fmac_f32_e32 v135, 0xbf167918, v162
	v_fmac_f32_e32 v145, 0x3f167918, v154
	s_delay_alu instid0(VALU_DEP_3) | instskip(NEXT) | instid1(VALU_DEP_3)
	v_fmac_f32_e32 v136, 0x3e9e377a, v4
	v_dual_fmac_f32 v135, 0x3e9e377a, v4 :: v_dual_add_f32 v4, v9, v133
	v_dual_sub_f32 v9, v134, v131 :: v_dual_fmac_f32 v144, 0x3e9e377a, v137
	s_delay_alu instid0(VALU_DEP_2) | instskip(NEXT) | instid1(VALU_DEP_2)
	v_dual_sub_f32 v137, v42, v30 :: v_dual_fmac_f32 v10, 0x3e9e377a, v4
	v_dual_fmac_f32 v145, 0x3e9e377a, v4 :: v_dual_add_f32 v4, v5, v9
	v_fmamk_f32 v5, v151, 0xbf737871, v148
	v_fmac_f32_e32 v148, 0x3f737871, v151
	v_fmac_f32_e32 v55, 0xbf4f1bbd, v144
	s_delay_alu instid0(VALU_DEP_3) | instskip(NEXT) | instid1(VALU_DEP_3)
	v_dual_fmac_f32 v132, 0x3f167918, v144 :: v_dual_fmac_f32 v5, 0x3f167918, v153
	v_fmac_f32_e32 v148, 0xbf167918, v153
	s_delay_alu instid0(VALU_DEP_2) | instskip(NEXT) | instid1(VALU_DEP_2)
	v_fmac_f32_e32 v5, 0x3e9e377a, v4
	v_fmac_f32_e32 v148, 0x3e9e377a, v4
	s_delay_alu instid0(VALU_DEP_2) | instskip(SKIP_1) | instid1(VALU_DEP_3)
	v_mul_f32_e32 v15, 0xbf737871, v5
	v_mul_f32_e32 v131, 0x3e9e377a, v5
	v_mul_f32_e32 v133, 0xbf737871, v148
	v_mul_f32_e32 v134, 0xbe9e377a, v148
	v_sub_f32_e32 v139, v26, v36
	v_fmac_f32_e32 v15, 0x3e9e377a, v10
	v_fmac_f32_e32 v131, 0x3f737871, v10
	;; [unrolled: 1-line block ×4, first 2 shown]
	s_delay_alu instid0(VALU_DEP_4) | instskip(NEXT) | instid1(VALU_DEP_4)
	v_add_f32_e32 v4, v12, v15
	v_add_f32_e32 v5, v136, v131
	s_delay_alu instid0(VALU_DEP_4) | instskip(NEXT) | instid1(VALU_DEP_4)
	v_add_f32_e32 v9, v11, v133
	v_add_f32_e32 v10, v135, v134
	ds_store_2addr_b64 v225, v[4:5], v[9:10] offset0:20 offset1:30
	v_dual_sub_f32 v4, v160, v164 :: v_dual_sub_f32 v5, v163, v165
	v_dual_add_f32 v9, v1, v55 :: v_dual_add_f32 v10, v52, v132
	ds_store_2addr_b64 v225, v[9:10], v[4:5] offset0:40 offset1:50
	v_dual_sub_f32 v4, v53, v0 :: v_dual_sub_f32 v5, v54, v43
	v_sub_f32_e32 v9, v12, v15
	v_sub_f32_e32 v10, v136, v131
	v_dual_sub_f32 v0, v1, v55 :: v_dual_sub_f32 v1, v52, v132
	v_dual_sub_f32 v53, v39, v69 :: v_dual_sub_f32 v54, v41, v130
	ds_store_2addr_b64 v225, v[4:5], v[9:10] offset0:60 offset1:70
	v_sub_f32_e32 v4, v11, v133
	v_sub_f32_e32 v5, v135, v134
	v_dual_sub_f32 v55, v29, v37 :: v_dual_sub_f32 v136, v27, v38
	ds_store_2addr_b64 v225, v[4:5], v[0:1] offset0:80 offset1:90
	v_dual_sub_f32 v0, v26, v31 :: v_dual_sub_f32 v1, v36, v28
	v_add_f32_e32 v5, v25, v41
	v_sub_f32_e32 v52, v40, v129
	v_add_f32_e32 v4, v24, v40
	s_delay_alu instid0(VALU_DEP_4) | instskip(SKIP_1) | instid1(VALU_DEP_3)
	v_dual_add_f32 v9, v0, v1 :: v_dual_sub_f32 v0, v27, v42
	v_dual_sub_f32 v1, v38, v30 :: v_dual_add_f32 v134, v31, v28
	v_dual_add_f32 v4, v4, v39 :: v_dual_add_f32 v5, v5, v29
	v_sub_f32_e32 v140, v31, v28
	s_delay_alu instid0(VALU_DEP_3) | instskip(SKIP_4) | instid1(VALU_DEP_4)
	v_add_f32_e32 v10, v0, v1
	v_dual_sub_f32 v0, v40, v39 :: v_dual_sub_f32 v1, v129, v69
	v_fma_f32 v134, -0.5, v134, v6
	v_add_f32_e32 v4, v4, v69
	v_add_f32_e32 v5, v5, v37
	;; [unrolled: 1-line block ×3, first 2 shown]
	v_sub_f32_e32 v0, v41, v29
	v_dual_sub_f32 v1, v130, v37 :: v_dual_fmamk_f32 v138, v136, 0xbf737871, v134
	s_delay_alu instid0(VALU_DEP_4) | instskip(SKIP_1) | instid1(VALU_DEP_3)
	v_dual_add_f32 v143, v4, v129 :: v_dual_add_f32 v144, v5, v130
	v_fmac_f32_e32 v134, 0x3f737871, v136
	v_add_f32_e32 v12, v0, v1
	v_add_f32_e32 v0, v39, v69
	v_fmac_f32_e32 v138, 0xbf167918, v137
	s_delay_alu instid0(VALU_DEP_4) | instskip(NEXT) | instid1(VALU_DEP_3)
	v_fmac_f32_e32 v134, 0x3f167918, v137
	v_fma_f32 v15, -0.5, v0, v24
	v_add_f32_e32 v0, v29, v37
	s_delay_alu instid0(VALU_DEP_4)
	v_fmac_f32_e32 v138, 0x3e9e377a, v9
	v_sub_f32_e32 v29, v29, v41
	v_sub_f32_e32 v37, v37, v130
	v_fmamk_f32 v1, v54, 0xbf737871, v15
	v_fma_f32 v43, -0.5, v0, v25
	v_fmac_f32_e32 v15, 0x3f737871, v54
	v_fmac_f32_e32 v134, 0x3e9e377a, v9
	s_delay_alu instid0(VALU_DEP_4) | instskip(NEXT) | instid1(VALU_DEP_4)
	v_fmac_f32_e32 v1, 0xbf167918, v55
	v_fmamk_f32 v0, v52, 0x3f737871, v43
	v_fmac_f32_e32 v43, 0xbf737871, v52
	v_fmac_f32_e32 v15, 0x3f167918, v55
	s_delay_alu instid0(VALU_DEP_4) | instskip(NEXT) | instid1(VALU_DEP_4)
	v_fmac_f32_e32 v1, 0x3e9e377a, v11
	v_fmac_f32_e32 v0, 0x3f167918, v53
	s_delay_alu instid0(VALU_DEP_4) | instskip(NEXT) | instid1(VALU_DEP_2)
	v_fmac_f32_e32 v43, 0xbf167918, v53
	v_dual_fmac_f32 v15, 0x3e9e377a, v11 :: v_dual_fmac_f32 v0, 0x3e9e377a, v12
	s_delay_alu instid0(VALU_DEP_2) | instskip(NEXT) | instid1(VALU_DEP_2)
	v_fmac_f32_e32 v43, 0x3e9e377a, v12
	v_mul_f32_e32 v131, 0xbf167918, v0
	v_mul_f32_e32 v132, 0x3f4f1bbd, v0
	s_delay_alu instid0(VALU_DEP_3) | instskip(NEXT) | instid1(VALU_DEP_3)
	v_dual_add_f32 v0, v42, v30 :: v_dual_mul_f32 v9, 0xbf167918, v43
	v_fmac_f32_e32 v131, 0x3f4f1bbd, v1
	s_delay_alu instid0(VALU_DEP_3) | instskip(NEXT) | instid1(VALU_DEP_3)
	v_fmac_f32_e32 v132, 0x3f167918, v1
	v_fma_f32 v133, -0.5, v0, v7
	v_dual_add_f32 v0, v6, v26 :: v_dual_add_f32 v1, v7, v27
	s_delay_alu instid0(VALU_DEP_4) | instskip(SKIP_1) | instid1(VALU_DEP_3)
	v_add_f32_e32 v4, v138, v131
	v_fmac_f32_e32 v9, 0xbf4f1bbd, v15
	v_dual_fmamk_f32 v141, v139, 0x3f737871, v133 :: v_dual_add_f32 v0, v0, v31
	s_delay_alu instid0(VALU_DEP_4) | instskip(SKIP_1) | instid1(VALU_DEP_3)
	v_add_f32_e32 v1, v1, v42
	v_fmac_f32_e32 v133, 0xbf737871, v139
	v_fmac_f32_e32 v141, 0x3f167918, v140
	s_delay_alu instid0(VALU_DEP_3) | instskip(NEXT) | instid1(VALU_DEP_3)
	v_dual_add_f32 v0, v0, v28 :: v_dual_add_f32 v1, v1, v30
	v_fmac_f32_e32 v133, 0xbf167918, v140
	s_delay_alu instid0(VALU_DEP_3) | instskip(NEXT) | instid1(VALU_DEP_3)
	v_fmac_f32_e32 v141, 0x3e9e377a, v10
	v_dual_add_f32 v135, v0, v36 :: v_dual_add_f32 v142, v1, v38
	s_delay_alu instid0(VALU_DEP_3) | instskip(NEXT) | instid1(VALU_DEP_3)
	v_fmac_f32_e32 v133, 0x3e9e377a, v10
	v_dual_mul_f32 v10, 0xbf4f1bbd, v43 :: v_dual_add_f32 v5, v141, v132
	s_delay_alu instid0(VALU_DEP_3) | instskip(NEXT) | instid1(VALU_DEP_2)
	v_dual_add_f32 v0, v135, v143 :: v_dual_add_f32 v1, v142, v144
	v_dual_fmac_f32 v10, 0x3f167918, v15 :: v_dual_sub_f32 v15, v21, v14
	ds_store_2addr_b64 v223, v[0:1], v[4:5] offset1:10
	v_add_f32_e32 v0, v27, v38
	v_dual_sub_f32 v1, v30, v38 :: v_dual_sub_f32 v4, v39, v40
	v_dual_add_f32 v5, v40, v129 :: v_dual_add_f32 v30, v41, v130
	s_delay_alu instid0(VALU_DEP_3) | instskip(SKIP_1) | instid1(VALU_DEP_3)
	v_dual_fmac_f32 v7, -0.5, v0 :: v_dual_sub_f32 v0, v42, v27
	v_sub_f32_e32 v27, v69, v129
	v_dual_fmac_f32 v24, -0.5, v5 :: v_dual_fmac_f32 v25, -0.5, v30
	s_delay_alu instid0(VALU_DEP_3) | instskip(NEXT) | instid1(VALU_DEP_3)
	v_dual_sub_f32 v5, v31, v26 :: v_dual_add_f32 v0, v0, v1
	v_add_f32_e32 v1, v4, v27
	v_dual_sub_f32 v27, v28, v36 :: v_dual_add_f32 v4, v29, v37
	s_delay_alu instid0(VALU_DEP_4) | instskip(SKIP_1) | instid1(VALU_DEP_3)
	v_fmamk_f32 v28, v55, 0x3f737871, v24
	v_fmac_f32_e32 v24, 0xbf737871, v55
	v_dual_add_f32 v26, v26, v36 :: v_dual_add_f32 v5, v5, v27
	v_fmamk_f32 v27, v53, 0xbf737871, v25
	v_fmac_f32_e32 v25, 0x3f737871, v53
	s_delay_alu instid0(VALU_DEP_4) | instskip(NEXT) | instid1(VALU_DEP_4)
	v_fmac_f32_e32 v24, 0x3f167918, v54
	v_fma_f32 v6, -0.5, v26, v6
	v_fmamk_f32 v26, v140, 0xbf737871, v7
	v_fmac_f32_e32 v27, 0x3f167918, v52
	v_fmac_f32_e32 v25, 0xbf167918, v52
	v_fmac_f32_e32 v24, 0x3e9e377a, v1
	v_fmac_f32_e32 v7, 0x3f737871, v140
	v_fmac_f32_e32 v28, 0xbf167918, v54
	v_fmac_f32_e32 v27, 0x3e9e377a, v4
	v_fmac_f32_e32 v25, 0x3e9e377a, v4
	v_fmac_f32_e32 v26, 0x3f167918, v139
	v_fmac_f32_e32 v7, 0xbf167918, v139
	v_fmac_f32_e32 v28, 0x3e9e377a, v1
	v_mul_f32_e32 v30, 0xbf737871, v27
	v_mul_f32_e32 v29, 0xbe9e377a, v25
	;; [unrolled: 1-line block ×4, first 2 shown]
	v_fmac_f32_e32 v7, 0x3e9e377a, v0
	v_fmac_f32_e32 v26, 0x3e9e377a, v0
	;; [unrolled: 1-line block ×4, first 2 shown]
	v_fmamk_f32 v24, v137, 0x3f737871, v6
	v_fmac_f32_e32 v6, 0xbf737871, v137
	v_fmac_f32_e32 v30, 0x3e9e377a, v28
	;; [unrolled: 1-line block ×3, first 2 shown]
	s_delay_alu instid0(VALU_DEP_4) | instskip(NEXT) | instid1(VALU_DEP_4)
	v_dual_add_f32 v1, v7, v29 :: v_dual_fmac_f32 v24, 0xbf167918, v136
	v_fmac_f32_e32 v6, 0x3f167918, v136
	v_dual_sub_f32 v36, v8, v71 :: v_dual_sub_f32 v39, v18, v13
	v_sub_f32_e32 v37, v23, v33
	s_delay_alu instid0(VALU_DEP_4) | instskip(NEXT) | instid1(VALU_DEP_4)
	v_fmac_f32_e32 v24, 0x3e9e377a, v5
	v_dual_fmac_f32 v6, 0x3e9e377a, v5 :: v_dual_add_f32 v5, v26, v27
	v_sub_f32_e32 v40, v20, v32
	s_delay_alu instid0(VALU_DEP_3) | instskip(NEXT) | instid1(VALU_DEP_3)
	v_add_f32_e32 v4, v24, v30
	v_add_f32_e32 v0, v6, v25
	ds_store_2addr_b64 v223, v[4:5], v[0:1] offset0:20 offset1:30
	v_dual_sub_f32 v0, v135, v143 :: v_dual_sub_f32 v1, v142, v144
	v_dual_add_f32 v4, v134, v9 :: v_dual_add_f32 v5, v133, v10
	ds_store_2addr_b64 v223, v[4:5], v[0:1] offset0:40 offset1:50
	v_dual_sub_f32 v0, v138, v131 :: v_dual_sub_f32 v1, v141, v132
	v_dual_sub_f32 v4, v24, v30 :: v_dual_sub_f32 v5, v26, v27
	v_sub_f32_e32 v24, v34, v70
	v_sub_f32_e32 v26, v35, v68
	v_add_f32_e32 v30, v20, v32
	ds_store_2addr_b64 v223, v[0:1], v[4:5] offset0:60 offset1:70
	v_sub_f32_e32 v1, v7, v29
	v_sub_f32_e32 v0, v6, v25
	v_dual_sub_f32 v4, v134, v9 :: v_dual_sub_f32 v5, v133, v10
	v_sub_f32_e32 v25, v22, v128
	v_fma_f32 v30, -0.5, v30, v2
	ds_store_2addr_b64 v223, v[0:1], v[4:5] offset0:80 offset1:90
	v_sub_f32_e32 v0, v18, v20
	v_dual_sub_f32 v1, v13, v32 :: v_dual_add_f32 v4, v16, v21
	v_dual_add_f32 v5, v17, v22 :: v_dual_fmamk_f32 v38, v36, 0xbf737871, v30
	v_fmac_f32_e32 v30, 0x3f737871, v36
	s_delay_alu instid0(VALU_DEP_3) | instskip(SKIP_1) | instid1(VALU_DEP_4)
	v_add_f32_e32 v6, v0, v1
	v_dual_sub_f32 v0, v8, v23 :: v_dual_sub_f32 v1, v71, v33
	v_dual_add_f32 v4, v4, v34 :: v_dual_add_f32 v5, v5, v35
	v_fmac_f32_e32 v38, 0xbf167918, v37
	v_fmac_f32_e32 v30, 0x3f167918, v37
	s_delay_alu instid0(VALU_DEP_4) | instskip(SKIP_3) | instid1(VALU_DEP_3)
	v_dual_add_f32 v7, v0, v1 :: v_dual_sub_f32 v0, v21, v34
	v_sub_f32_e32 v1, v14, v70
	v_dual_add_f32 v4, v4, v70 :: v_dual_add_f32 v5, v5, v68
	v_fmac_f32_e32 v38, 0x3e9e377a, v6
	v_dual_fmac_f32 v30, 0x3e9e377a, v6 :: v_dual_add_f32 v9, v0, v1
	v_dual_sub_f32 v0, v22, v35 :: v_dual_sub_f32 v1, v128, v68
	s_delay_alu instid0(VALU_DEP_4) | instskip(NEXT) | instid1(VALU_DEP_2)
	v_dual_add_f32 v43, v4, v14 :: v_dual_add_f32 v52, v5, v128
	v_add_f32_e32 v10, v0, v1
	v_add_f32_e32 v0, v34, v70
	s_delay_alu instid0(VALU_DEP_1) | instskip(NEXT) | instid1(VALU_DEP_1)
	v_fma_f32 v11, -0.5, v0, v16
	v_dual_add_f32 v0, v35, v68 :: v_dual_fmamk_f32 v1, v25, 0xbf737871, v11
	s_delay_alu instid0(VALU_DEP_1) | instskip(SKIP_1) | instid1(VALU_DEP_3)
	v_fma_f32 v12, -0.5, v0, v17
	v_fmac_f32_e32 v11, 0x3f737871, v25
	v_fmac_f32_e32 v1, 0xbf167918, v26
	s_delay_alu instid0(VALU_DEP_3) | instskip(SKIP_1) | instid1(VALU_DEP_4)
	v_fmamk_f32 v0, v15, 0x3f737871, v12
	v_fmac_f32_e32 v12, 0xbf737871, v15
	v_fmac_f32_e32 v11, 0x3f167918, v26
	s_delay_alu instid0(VALU_DEP_4) | instskip(NEXT) | instid1(VALU_DEP_4)
	v_fmac_f32_e32 v1, 0x3e9e377a, v9
	v_fmac_f32_e32 v0, 0x3f167918, v24
	s_delay_alu instid0(VALU_DEP_4) | instskip(NEXT) | instid1(VALU_DEP_2)
	v_fmac_f32_e32 v12, 0xbf167918, v24
	v_dual_fmac_f32 v11, 0x3e9e377a, v9 :: v_dual_fmac_f32 v0, 0x3e9e377a, v10
	s_delay_alu instid0(VALU_DEP_2) | instskip(NEXT) | instid1(VALU_DEP_2)
	v_fmac_f32_e32 v12, 0x3e9e377a, v10
	v_mul_f32_e32 v27, 0xbf167918, v0
	v_mul_f32_e32 v28, 0x3f4f1bbd, v0
	v_add_f32_e32 v0, v23, v33
	s_delay_alu instid0(VALU_DEP_4) | instskip(NEXT) | instid1(VALU_DEP_4)
	v_mul_f32_e32 v6, 0xbf167918, v12
	v_fmac_f32_e32 v27, 0x3f4f1bbd, v1
	s_delay_alu instid0(VALU_DEP_4) | instskip(NEXT) | instid1(VALU_DEP_4)
	v_fmac_f32_e32 v28, 0x3f167918, v1
	v_fma_f32 v29, -0.5, v0, v3
	v_dual_add_f32 v0, v2, v18 :: v_dual_add_f32 v1, v3, v8
	s_delay_alu instid0(VALU_DEP_4) | instskip(SKIP_1) | instid1(VALU_DEP_3)
	v_add_f32_e32 v4, v38, v27
	v_fmac_f32_e32 v6, 0xbf4f1bbd, v11
	v_dual_fmamk_f32 v41, v39, 0x3f737871, v29 :: v_dual_add_f32 v0, v0, v20
	s_delay_alu instid0(VALU_DEP_4) | instskip(SKIP_1) | instid1(VALU_DEP_3)
	v_add_f32_e32 v1, v1, v23
	v_fmac_f32_e32 v29, 0xbf737871, v39
	v_fmac_f32_e32 v41, 0x3f167918, v40
	s_delay_alu instid0(VALU_DEP_3) | instskip(NEXT) | instid1(VALU_DEP_3)
	v_dual_add_f32 v0, v0, v32 :: v_dual_add_f32 v1, v1, v33
	v_fmac_f32_e32 v29, 0xbf167918, v40
	s_delay_alu instid0(VALU_DEP_3) | instskip(NEXT) | instid1(VALU_DEP_3)
	v_fmac_f32_e32 v41, 0x3e9e377a, v7
	v_dual_add_f32 v31, v0, v13 :: v_dual_add_f32 v42, v1, v71
	s_delay_alu instid0(VALU_DEP_3) | instskip(SKIP_1) | instid1(VALU_DEP_3)
	v_fmac_f32_e32 v29, 0x3e9e377a, v7
	v_mul_f32_e32 v7, 0xbf4f1bbd, v12
	v_dual_add_f32 v5, v41, v28 :: v_dual_add_f32 v0, v31, v43
	s_delay_alu instid0(VALU_DEP_4) | instskip(NEXT) | instid1(VALU_DEP_3)
	v_add_f32_e32 v1, v42, v52
	v_fmac_f32_e32 v7, 0x3f167918, v11
	ds_store_2addr_b64 v221, v[0:1], v[4:5] offset1:10
	v_add_f32_e32 v0, v8, v71
	v_dual_sub_f32 v1, v33, v71 :: v_dual_sub_f32 v4, v34, v21
	v_add_f32_e32 v5, v21, v14
	v_add_f32_e32 v21, v22, v128
	s_delay_alu instid0(VALU_DEP_4)
	v_fmac_f32_e32 v3, -0.5, v0
	v_sub_f32_e32 v0, v23, v8
	v_sub_f32_e32 v8, v70, v14
	v_fmac_f32_e32 v16, -0.5, v5
	v_fmac_f32_e32 v17, -0.5, v21
	v_sub_f32_e32 v5, v20, v18
	v_add_f32_e32 v0, v0, v1
	v_add_f32_e32 v1, v4, v8
	v_sub_f32_e32 v8, v32, v13
	v_sub_f32_e32 v14, v35, v22
	v_dual_sub_f32 v22, v68, v128 :: v_dual_add_f32 v13, v18, v13
	s_delay_alu instid0(VALU_DEP_3) | instskip(NEXT) | instid1(VALU_DEP_2)
	v_dual_add_f32 v5, v5, v8 :: v_dual_fmamk_f32 v8, v24, 0xbf737871, v17
	v_dual_fmac_f32 v17, 0x3f737871, v24 :: v_dual_add_f32 v4, v14, v22
	v_fmamk_f32 v14, v26, 0x3f737871, v16
	v_fmac_f32_e32 v16, 0xbf737871, v26
	v_fma_f32 v2, -0.5, v13, v2
	s_delay_alu instid0(VALU_DEP_4)
	v_fmac_f32_e32 v17, 0xbf167918, v15
	v_fmac_f32_e32 v8, 0x3f167918, v15
	;; [unrolled: 1-line block ×4, first 2 shown]
	v_fmamk_f32 v13, v37, 0x3f737871, v2
	v_fmac_f32_e32 v17, 0x3e9e377a, v4
	v_fmac_f32_e32 v2, 0xbf737871, v37
	;; [unrolled: 1-line block ×5, first 2 shown]
	v_mul_f32_e32 v18, 0xbe9e377a, v17
	v_mul_f32_e32 v17, 0xbf737871, v17
	v_fmac_f32_e32 v2, 0x3f167918, v36
	v_fmac_f32_e32 v14, 0x3e9e377a, v1
	v_mul_f32_e32 v20, 0xbf737871, v8
	v_fmac_f32_e32 v18, 0x3f737871, v16
	v_fmac_f32_e32 v17, 0xbe9e377a, v16
	v_fmamk_f32 v16, v40, 0xbf737871, v3
	v_fmac_f32_e32 v3, 0x3f737871, v40
	v_mul_f32_e32 v8, 0x3e9e377a, v8
	v_fmac_f32_e32 v2, 0x3e9e377a, v5
	v_fmac_f32_e32 v13, 0x3e9e377a, v5
	v_fmac_f32_e32 v16, 0x3f167918, v39
	v_fmac_f32_e32 v3, 0xbf167918, v39
	v_fmac_f32_e32 v20, 0x3e9e377a, v14
	v_fmac_f32_e32 v8, 0x3f737871, v14
	s_delay_alu instid0(VALU_DEP_4) | instskip(NEXT) | instid1(VALU_DEP_4)
	v_fmac_f32_e32 v16, 0x3e9e377a, v0
	v_dual_fmac_f32 v3, 0x3e9e377a, v0 :: v_dual_add_f32 v0, v2, v17
	s_delay_alu instid0(VALU_DEP_4) | instskip(NEXT) | instid1(VALU_DEP_3)
	v_add_f32_e32 v4, v13, v20
	v_add_f32_e32 v5, v16, v8
	s_delay_alu instid0(VALU_DEP_3)
	v_add_f32_e32 v1, v3, v18
	ds_store_2addr_b64 v221, v[4:5], v[0:1] offset0:20 offset1:30
	v_dual_sub_f32 v0, v31, v43 :: v_dual_sub_f32 v1, v42, v52
	v_dual_add_f32 v4, v30, v6 :: v_dual_add_f32 v5, v29, v7
	ds_store_2addr_b64 v221, v[4:5], v[0:1] offset0:40 offset1:50
	v_dual_sub_f32 v0, v38, v27 :: v_dual_sub_f32 v1, v41, v28
	v_sub_f32_e32 v4, v13, v20
	v_sub_f32_e32 v5, v16, v8
	ds_store_2addr_b64 v221, v[0:1], v[4:5] offset0:60 offset1:70
	v_dual_sub_f32 v1, v3, v18 :: v_dual_sub_f32 v0, v2, v17
	v_dual_sub_f32 v2, v30, v6 :: v_dual_sub_f32 v3, v29, v7
	ds_store_2addr_b64 v221, v[0:1], v[2:3] offset0:80 offset1:90
	s_waitcnt lgkmcnt(0)
	s_barrier
	buffer_gl0_inv
	ds_load_2addr_b64 v[0:3], v248 offset0:48 offset1:168
	ds_load_2addr_b64 v[4:7], v19 offset1:120
	s_waitcnt lgkmcnt(1)
	v_mul_f32_e32 v27, v234, v1
	v_mul_f32_e32 v23, v238, v3
	s_delay_alu instid0(VALU_DEP_2) | instskip(NEXT) | instid1(VALU_DEP_2)
	v_fmac_f32_e32 v27, v233, v0
	v_dual_mul_f32 v0, v234, v0 :: v_dual_fmac_f32 v23, v237, v2
	s_delay_alu instid0(VALU_DEP_1) | instskip(SKIP_1) | instid1(VALU_DEP_1)
	v_fma_f32 v30, v233, v1, -v0
	v_mul_f32_e32 v0, v238, v2
	v_fma_f32 v24, v237, v3, -v0
	ds_load_2addr_b64 v[0:3], v179 offset0:32 offset1:152
	s_waitcnt lgkmcnt(0)
	v_mul_f32_e32 v17, v228, v1
	v_mul_f32_e32 v13, v230, v3
	s_delay_alu instid0(VALU_DEP_2) | instskip(NEXT) | instid1(VALU_DEP_2)
	v_fmac_f32_e32 v17, v227, v0
	v_dual_mul_f32 v0, v228, v0 :: v_dual_fmac_f32 v13, v229, v2
	s_delay_alu instid0(VALU_DEP_1) | instskip(SKIP_1) | instid1(VALU_DEP_1)
	v_fma_f32 v20, v227, v1, -v0
	v_mul_f32_e32 v0, v230, v2
	v_fma_f32 v14, v229, v3, -v0
	ds_load_2addr_b64 v[0:3], v170 offset0:64 offset1:184
	s_waitcnt lgkmcnt(0)
	v_dual_mul_f32 v9, v232, v3 :: v_dual_mul_f32 v18, v107, v1
	s_delay_alu instid0(VALU_DEP_1) | instskip(SKIP_1) | instid1(VALU_DEP_3)
	v_fmac_f32_e32 v9, v231, v2
	v_mul_f32_e32 v2, v232, v2
	v_fmac_f32_e32 v18, v106, v0
	v_mul_f32_e32 v0, v107, v0
	s_delay_alu instid0(VALU_DEP_3) | instskip(NEXT) | instid1(VALU_DEP_2)
	v_fma_f32 v10, v231, v3, -v2
	v_fma_f32 v8, v106, v1, -v0
	ds_load_2addr_b64 v[0:3], v169 offset0:112 offset1:232
	s_waitcnt lgkmcnt(0)
	v_mul_f32_e32 v15, v105, v3
	s_delay_alu instid0(VALU_DEP_1) | instskip(SKIP_1) | instid1(VALU_DEP_2)
	v_dual_mul_f32 v28, v89, v1 :: v_dual_fmac_f32 v15, v104, v2
	v_mul_f32_e32 v2, v105, v2
	v_fmac_f32_e32 v28, v88, v0
	v_mul_f32_e32 v0, v89, v0
	s_delay_alu instid0(VALU_DEP_3) | instskip(NEXT) | instid1(VALU_DEP_2)
	v_fma_f32 v16, v104, v3, -v2
	v_fma_f32 v29, v88, v1, -v0
	ds_load_2addr_b64 v[0:3], v176 offset0:80 offset1:200
	s_waitcnt lgkmcnt(0)
	v_mul_f32_e32 v31, v91, v3
	s_delay_alu instid0(VALU_DEP_1) | instskip(SKIP_1) | instid1(VALU_DEP_2)
	v_dual_mul_f32 v40, v75, v1 :: v_dual_fmac_f32 v31, v90, v2
	;; [unrolled: 11-line block ×3, first 2 shown]
	v_mul_f32_e32 v2, v73, v2
	v_fmac_f32_e32 v52, v60, v0
	v_mul_f32_e32 v0, v61, v0
	s_delay_alu instid0(VALU_DEP_3) | instskip(NEXT) | instid1(VALU_DEP_2)
	v_fma_f32 v38, v72, v3, -v2
	v_fma_f32 v53, v60, v1, -v0
	ds_load_2addr_b64 v[0:3], v173 offset0:96 offset1:216
	s_waitcnt lgkmcnt(0)
	v_mul_f32_e32 v54, v63, v3
	s_delay_alu instid0(VALU_DEP_1) | instskip(NEXT) | instid1(VALU_DEP_1)
	v_dual_mul_f32 v11, v51, v1 :: v_dual_fmac_f32 v54, v62, v2
	v_dual_mul_f32 v2, v63, v2 :: v_dual_fmac_f32 v11, v50, v0
	v_mul_f32_e32 v0, v51, v0
	s_delay_alu instid0(VALU_DEP_2) | instskip(NEXT) | instid1(VALU_DEP_2)
	v_fma_f32 v55, v62, v3, -v2
	v_fma_f32 v12, v50, v1, -v0
	ds_load_2addr_b64 v[0:3], v172 offset0:16 offset1:136
	s_waitcnt lgkmcnt(0)
	v_dual_mul_f32 v50, v49, v3 :: v_dual_mul_f32 v25, v87, v1
	s_delay_alu instid0(VALU_DEP_1) | instskip(NEXT) | instid1(VALU_DEP_2)
	v_fmac_f32_e32 v50, v48, v2
	v_dual_mul_f32 v2, v49, v2 :: v_dual_fmac_f32 v25, v86, v0
	v_mul_f32_e32 v0, v87, v0
	s_delay_alu instid0(VALU_DEP_2) | instskip(NEXT) | instid1(VALU_DEP_2)
	v_fma_f32 v51, v48, v3, -v2
	v_fma_f32 v26, v86, v1, -v0
	ds_load_2addr_b64 v[0:3], v171 offset0:64 offset1:184
	s_waitcnt lgkmcnt(0)
	v_mul_f32_e32 v21, v85, v3
	s_delay_alu instid0(VALU_DEP_1) | instskip(SKIP_1) | instid1(VALU_DEP_2)
	v_dual_mul_f32 v32, v77, v1 :: v_dual_fmac_f32 v21, v84, v2
	v_mul_f32_e32 v2, v85, v2
	v_fmac_f32_e32 v32, v76, v0
	v_mul_f32_e32 v0, v77, v0
	s_delay_alu instid0(VALU_DEP_3) | instskip(NEXT) | instid1(VALU_DEP_2)
	v_fma_f32 v22, v84, v3, -v2
	v_fma_f32 v34, v76, v1, -v0
	ds_load_2addr_b64 v[0:3], v167 offset0:32 offset1:152
	s_waitcnt lgkmcnt(0)
	v_mul_f32_e32 v35, v79, v3
	v_mul_f32_e32 v43, v59, v1
	s_delay_alu instid0(VALU_DEP_2) | instskip(NEXT) | instid1(VALU_DEP_2)
	v_fmac_f32_e32 v35, v78, v2
	v_dual_mul_f32 v2, v79, v2 :: v_dual_fmac_f32 v43, v58, v0
	v_mul_f32_e32 v0, v59, v0
	s_delay_alu instid0(VALU_DEP_2) | instskip(NEXT) | instid1(VALU_DEP_2)
	v_fma_f32 v36, v78, v3, -v2
	v_fma_f32 v48, v58, v1, -v0
	ds_load_2addr_b64 v[0:3], v166 offset0:80 offset1:200
	s_waitcnt lgkmcnt(0)
	v_mul_f32_e32 v41, v57, v3
	v_mul_f32_e32 v49, v45, v1
	s_delay_alu instid0(VALU_DEP_2) | instskip(NEXT) | instid1(VALU_DEP_2)
	v_fmac_f32_e32 v41, v56, v2
	v_dual_mul_f32 v2, v57, v2 :: v_dual_fmac_f32 v49, v44, v0
	v_mul_f32_e32 v0, v45, v0
	s_delay_alu instid0(VALU_DEP_2) | instskip(NEXT) | instid1(VALU_DEP_2)
	v_fma_f32 v42, v56, v3, -v2
	v_fma_f32 v44, v44, v1, -v0
	ds_load_2addr_b64 v[0:3], v178 offset0:48 offset1:168
	s_waitcnt lgkmcnt(0)
	v_mul_f32_e32 v45, v47, v3
	s_delay_alu instid0(VALU_DEP_1) | instskip(SKIP_2) | instid1(VALU_DEP_2)
	v_fmac_f32_e32 v45, v46, v2
	v_mul_f32_e32 v2, v47, v2
	v_mul_f32_e32 v47, v207, v1
	v_fma_f32 v46, v46, v3, -v2
	s_delay_alu instid0(VALU_DEP_2) | instskip(SKIP_1) | instid1(VALU_DEP_1)
	v_fmac_f32_e32 v47, v206, v0
	v_mul_f32_e32 v0, v207, v0
	v_fma_f32 v56, v206, v1, -v0
	ds_load_2addr_b64 v[0:3], v247 offset0:96 offset1:216
	s_waitcnt lgkmcnt(0)
	v_mul_f32_e32 v57, v205, v3
	s_delay_alu instid0(VALU_DEP_1) | instskip(SKIP_1) | instid1(VALU_DEP_2)
	v_fmac_f32_e32 v57, v204, v2
	v_mul_f32_e32 v2, v205, v2
	v_add_f32_e32 v61, v57, v50
	s_delay_alu instid0(VALU_DEP_2) | instskip(SKIP_1) | instid1(VALU_DEP_1)
	v_fma_f32 v58, v204, v3, -v2
	v_dual_add_f32 v3, v5, v56 :: v_dual_add_f32 v2, v4, v47
	v_dual_add_f32 v61, v61, v9 :: v_dual_add_f32 v60, v3, v12
	v_add_f32_e32 v3, v51, v10
	s_delay_alu instid0(VALU_DEP_3)
	v_add_f32_e32 v59, v2, v11
	v_add_f32_e32 v2, v47, v11
	v_sub_f32_e32 v47, v47, v11
	v_add_f32_e32 v11, v56, v12
	v_sub_f32_e32 v56, v56, v12
	v_add_f32_e32 v12, v58, v51
	v_dual_fmac_f32 v58, -0.5, v3 :: v_dual_add_f32 v3, v50, v9
	v_dual_sub_f32 v50, v50, v9 :: v_dual_sub_f32 v51, v51, v10
	v_fma_f32 v69, -0.5, v2, v4
	v_fma_f32 v70, -0.5, v11, v5
	s_delay_alu instid0(VALU_DEP_4) | instskip(NEXT) | instid1(VALU_DEP_4)
	v_fmac_f32_e32 v57, -0.5, v3
	v_fmamk_f32 v3, v50, 0x3f5db3d7, v58
	v_fmac_f32_e32 v58, 0xbf5db3d7, v50
	v_add_f32_e32 v62, v12, v10
	v_fmamk_f32 v71, v56, 0xbf5db3d7, v69
	v_fmamk_f32 v72, v47, 0x3f5db3d7, v70
	v_mul_f32_e32 v63, 0xbf5db3d7, v3
	v_dual_mul_f32 v68, 0.5, v3 :: v_dual_fmamk_f32 v3, v51, 0xbf5db3d7, v57
	v_fmac_f32_e32 v57, 0x3f5db3d7, v51
	v_dual_fmac_f32 v70, 0xbf5db3d7, v47 :: v_dual_mul_f32 v47, 0xbf5db3d7, v58
	s_delay_alu instid0(VALU_DEP_3) | instskip(NEXT) | instid1(VALU_DEP_4)
	v_dual_mul_f32 v50, -0.5, v58 :: v_dual_fmac_f32 v63, 0.5, v3
	v_fmac_f32_e32 v68, 0x3f5db3d7, v3
	ds_load_2addr_b64 v[2:5], v255 offset0:112 offset1:232
	s_waitcnt lgkmcnt(0)
	s_barrier
	buffer_gl0_inv
	s_clause 0x1
	scratch_load_b32 v75, off, off offset:256
	scratch_load_b32 v51, off, off offset:248
	v_dual_add_f32 v9, v59, v61 :: v_dual_add_f32 v10, v60, v62
	v_dual_add_f32 v11, v71, v63 :: v_dual_add_f32 v12, v72, v68
	v_fmac_f32_e32 v69, 0x3f5db3d7, v56
	v_fmac_f32_e32 v47, -0.5, v57
	v_fmac_f32_e32 v50, 0x3f5db3d7, v57
	scratch_load_b32 v57, off, off offset:288 ; 4-byte Folded Reload
	s_waitcnt vmcnt(2)
	ds_store_2addr_b64 v75, v[9:10], v[11:12] offset1:100
	v_dual_sub_f32 v9, v59, v61 :: v_dual_sub_f32 v10, v60, v62
	v_dual_add_f32 v11, v69, v47 :: v_dual_add_f32 v12, v70, v50
	s_waitcnt vmcnt(1)
	ds_store_2addr_b64 v51, v[11:12], v[9:10] offset0:72 offset1:172
	v_sub_f32_e32 v11, v69, v47
	scratch_load_b32 v47, off, off offset:252 ; 4-byte Folded Reload
	v_dual_sub_f32 v9, v71, v63 :: v_dual_sub_f32 v10, v72, v68
	v_dual_sub_f32 v12, v70, v50 :: v_dual_sub_f32 v51, v52, v27
	s_waitcnt vmcnt(0)
	ds_store_2addr_b64 v47, v[9:10], v[11:12] offset0:144 offset1:244
	v_dual_add_f32 v10, v7, v46 :: v_dual_add_f32 v9, v46, v55
	v_dual_add_f32 v11, v44, v53 :: v_dual_add_f32 v12, v49, v52
	v_sub_f32_e32 v46, v46, v55
	s_delay_alu instid0(VALU_DEP_3) | instskip(NEXT) | instid1(VALU_DEP_4)
	v_add_f32_e32 v50, v10, v55
	v_dual_add_f32 v10, v53, v30 :: v_dual_fmac_f32 v7, -0.5, v9
	s_delay_alu instid0(VALU_DEP_1) | instskip(NEXT) | instid1(VALU_DEP_1)
	v_dual_add_f32 v9, v6, v45 :: v_dual_fmac_f32 v44, -0.5, v10
	v_dual_add_f32 v10, v52, v27 :: v_dual_add_f32 v47, v9, v54
	v_add_f32_e32 v9, v45, v54
	v_sub_f32_e32 v52, v53, v30
	v_sub_f32_e32 v45, v45, v54
	s_delay_alu instid0(VALU_DEP_4) | instskip(NEXT) | instid1(VALU_DEP_4)
	v_dual_fmac_f32 v49, -0.5, v10 :: v_dual_fmamk_f32 v10, v51, 0x3f5db3d7, v44
	v_fma_f32 v6, -0.5, v9, v6
	v_dual_add_f32 v27, v12, v27 :: v_dual_add_f32 v30, v11, v30
	s_delay_alu instid0(VALU_DEP_4) | instskip(NEXT) | instid1(VALU_DEP_4)
	v_fmamk_f32 v56, v45, 0x3f5db3d7, v7
	v_mul_f32_e32 v53, 0xbf5db3d7, v10
	v_mul_f32_e32 v54, 0.5, v10
	v_dual_fmamk_f32 v10, v52, 0xbf5db3d7, v49 :: v_dual_fmamk_f32 v55, v46, 0xbf5db3d7, v6
	v_add_f32_e32 v9, v47, v27
	v_fmac_f32_e32 v44, 0xbf5db3d7, v51
	v_fmac_f32_e32 v49, 0x3f5db3d7, v52
	s_delay_alu instid0(VALU_DEP_4) | instskip(SKIP_4) | instid1(VALU_DEP_4)
	v_fmac_f32_e32 v53, 0.5, v10
	v_fmac_f32_e32 v54, 0x3f5db3d7, v10
	v_add_f32_e32 v10, v50, v30
	v_fmac_f32_e32 v6, 0x3f5db3d7, v46
	v_fmac_f32_e32 v7, 0xbf5db3d7, v45
	v_dual_add_f32 v11, v55, v53 :: v_dual_add_f32 v12, v56, v54
	scratch_load_b32 v45, off, off offset:284 ; 4-byte Folded Reload
	ds_store_2addr_b64 v57, v[9:10], v[11:12] offset1:100
	v_dual_sub_f32 v9, v47, v27 :: v_dual_sub_f32 v10, v50, v30
	v_mul_f32_e32 v27, 0xbf5db3d7, v44
	v_mul_f32_e32 v30, -0.5, v44
	scratch_load_b32 v44, off, off offset:276 ; 4-byte Folded Reload
	v_fmac_f32_e32 v27, -0.5, v49
	s_delay_alu instid0(VALU_DEP_1) | instskip(NEXT) | instid1(VALU_DEP_1)
	v_dual_fmac_f32 v30, 0x3f5db3d7, v49 :: v_dual_add_f32 v11, v6, v27
	v_add_f32_e32 v12, v7, v30
	v_dual_sub_f32 v7, v7, v30 :: v_dual_sub_f32 v6, v6, v27
	v_add_f32_e32 v30, v42, v38
	s_waitcnt vmcnt(0)
	ds_store_2addr_b64 v44, v[11:12], v[9:10] offset0:72 offset1:172
	scratch_load_b32 v11, off, off offset:268 ; 4-byte Folded Reload
	v_dual_sub_f32 v9, v55, v53 :: v_dual_sub_f32 v10, v56, v54
	v_sub_f32_e32 v12, v48, v39
	s_waitcnt vmcnt(0)
	ds_store_2addr_b64 v11, v[9:10], v[6:7] offset0:144 offset1:244
	v_add_f32_e32 v6, v2, v43
	v_sub_f32_e32 v10, v43, v40
	v_add_f32_e32 v7, v3, v48
	v_add_f32_e32 v11, v48, v39
	s_delay_alu instid0(VALU_DEP_4) | instskip(SKIP_1) | instid1(VALU_DEP_4)
	v_add_f32_e32 v9, v6, v40
	v_add_f32_e32 v6, v43, v40
	;; [unrolled: 1-line block ×4, first 2 shown]
	v_dual_add_f32 v39, v41, v37 :: v_dual_sub_f32 v38, v38, v24
	s_delay_alu instid0(VALU_DEP_4) | instskip(SKIP_1) | instid1(VALU_DEP_4)
	v_fma_f32 v40, -0.5, v6, v2
	v_add_f32_e32 v24, v30, v24
	v_fmac_f32_e32 v42, -0.5, v7
	v_add_f32_e32 v7, v37, v23
	v_sub_f32_e32 v37, v37, v23
	v_fmamk_f32 v43, v12, 0xbf5db3d7, v40
	v_fmac_f32_e32 v40, 0x3f5db3d7, v12
	scratch_load_b32 v12, off, off offset:272 ; 4-byte Folded Reload
	v_fmac_f32_e32 v41, -0.5, v7
	v_fmamk_f32 v7, v37, 0x3f5db3d7, v42
	v_add_f32_e32 v23, v39, v23
	v_fma_f32 v11, -0.5, v11, v3
	v_dual_add_f32 v3, v27, v24 :: v_dual_fmac_f32 v42, 0xbf5db3d7, v37
	s_delay_alu instid0(VALU_DEP_4) | instskip(SKIP_4) | instid1(VALU_DEP_3)
	v_mul_f32_e32 v30, 0xbf5db3d7, v7
	v_mul_f32_e32 v39, 0.5, v7
	v_fmamk_f32 v7, v38, 0xbf5db3d7, v41
	v_fmamk_f32 v44, v10, 0x3f5db3d7, v11
	v_dual_add_f32 v2, v9, v23 :: v_dual_fmac_f32 v11, 0xbf5db3d7, v10
	v_dual_fmac_f32 v41, 0x3f5db3d7, v38 :: v_dual_fmac_f32 v30, 0.5, v7
	v_dual_fmac_f32 v39, 0x3f5db3d7, v7 :: v_dual_mul_f32 v10, -0.5, v42
	s_delay_alu instid0(VALU_DEP_1) | instskip(NEXT) | instid1(VALU_DEP_2)
	v_dual_add_f32 v6, v43, v30 :: v_dual_add_f32 v7, v44, v39
	v_fmac_f32_e32 v10, 0x3f5db3d7, v41
	ds_store_2addr_b64 v45, v[2:3], v[6:7] offset1:100
	v_dual_sub_f32 v2, v9, v23 :: v_dual_mul_f32 v9, 0xbf5db3d7, v42
	v_sub_f32_e32 v3, v27, v24
	v_dual_add_f32 v7, v11, v10 :: v_dual_sub_f32 v24, v29, v20
	s_delay_alu instid0(VALU_DEP_3) | instskip(NEXT) | instid1(VALU_DEP_1)
	v_fmac_f32_e32 v9, -0.5, v41
	v_add_f32_e32 v6, v40, v9
	s_waitcnt vmcnt(0)
	ds_store_2addr_b64 v12, v[6:7], v[2:3] offset0:72 offset1:172
	v_sub_f32_e32 v6, v40, v9
	scratch_load_b32 v9, off, off offset:264 ; 4-byte Folded Reload
	v_dual_sub_f32 v2, v43, v30 :: v_dual_sub_f32 v3, v44, v39
	v_sub_f32_e32 v7, v11, v10
	v_dual_sub_f32 v10, v35, v31 :: v_dual_sub_f32 v11, v36, v33
	s_waitcnt vmcnt(0)
	ds_store_2addr_b64 v9, v[2:3], v[6:7] offset0:144 offset1:244
	v_dual_add_f32 v2, v36, v33 :: v_dual_add_f32 v3, v5, v36
	s_delay_alu instid0(VALU_DEP_1) | instskip(SKIP_1) | instid1(VALU_DEP_3)
	v_dual_add_f32 v6, v34, v29 :: v_dual_fmac_f32 v5, -0.5, v2
	v_add_f32_e32 v2, v4, v35
	v_dual_add_f32 v12, v3, v33 :: v_dual_add_f32 v3, v29, v20
	s_delay_alu instid0(VALU_DEP_3) | instskip(NEXT) | instid1(VALU_DEP_4)
	v_add_f32_e32 v20, v6, v20
	v_fmamk_f32 v30, v10, 0x3f5db3d7, v5
	s_delay_alu instid0(VALU_DEP_4)
	v_add_f32_e32 v9, v2, v31
	v_add_f32_e32 v2, v35, v31
	scratch_load_b32 v31, off, off offset:280 ; 4-byte Folded Reload
	v_dual_fmac_f32 v34, -0.5, v3 :: v_dual_fmac_f32 v5, 0xbf5db3d7, v10
	v_add_f32_e32 v3, v28, v17
	v_fma_f32 v4, -0.5, v2, v4
	v_sub_f32_e32 v23, v28, v17
	s_delay_alu instid0(VALU_DEP_3) | instskip(NEXT) | instid1(VALU_DEP_3)
	v_dual_add_f32 v7, v32, v28 :: v_dual_fmac_f32 v32, -0.5, v3
	v_fmamk_f32 v29, v11, 0xbf5db3d7, v4
	v_fmac_f32_e32 v4, 0x3f5db3d7, v11
	scratch_load_b32 v11, off, off offset:260 ; 4-byte Folded Reload
	v_fmamk_f32 v3, v23, 0x3f5db3d7, v34
	v_dual_add_f32 v17, v7, v17 :: v_dual_fmac_f32 v34, 0xbf5db3d7, v23
	s_delay_alu instid0(VALU_DEP_2) | instskip(SKIP_1) | instid1(VALU_DEP_3)
	v_mul_f32_e32 v27, 0xbf5db3d7, v3
	v_dual_mul_f32 v28, 0.5, v3 :: v_dual_fmamk_f32 v3, v24, 0xbf5db3d7, v32
	v_add_f32_e32 v2, v9, v17
	v_fmac_f32_e32 v32, 0x3f5db3d7, v24
	s_delay_alu instid0(VALU_DEP_3) | instskip(NEXT) | instid1(VALU_DEP_4)
	v_dual_mul_f32 v10, -0.5, v34 :: v_dual_fmac_f32 v27, 0.5, v3
	v_dual_fmac_f32 v28, 0x3f5db3d7, v3 :: v_dual_add_f32 v3, v12, v20
	s_delay_alu instid0(VALU_DEP_2) | instskip(NEXT) | instid1(VALU_DEP_2)
	v_fmac_f32_e32 v10, 0x3f5db3d7, v32
	v_dual_add_f32 v6, v29, v27 :: v_dual_add_f32 v7, v30, v28
	s_waitcnt vmcnt(1)
	ds_store_2addr_b64 v31, v[2:3], v[6:7] offset1:100
	v_dual_sub_f32 v2, v9, v17 :: v_dual_mul_f32 v9, 0xbf5db3d7, v34
	v_sub_f32_e32 v3, v12, v20
	v_add_f32_e32 v7, v5, v10
	s_delay_alu instid0(VALU_DEP_3) | instskip(NEXT) | instid1(VALU_DEP_1)
	v_dual_sub_f32 v12, v16, v14 :: v_dual_fmac_f32 v9, -0.5, v32
	v_add_f32_e32 v6, v4, v9
	s_waitcnt vmcnt(0)
	ds_store_2addr_b64 v11, v[6:7], v[2:3] offset0:72 offset1:172
	scratch_load_b32 v6, off, off offset:300 ; 4-byte Folded Reload
	v_dual_sub_f32 v3, v5, v10 :: v_dual_sub_f32 v2, v4, v9
	v_dual_sub_f32 v4, v29, v27 :: v_dual_sub_f32 v5, v30, v28
	v_sub_f32_e32 v7, v25, v18
	v_dual_sub_f32 v9, v26, v8 :: v_dual_sub_f32 v10, v15, v13
	s_waitcnt vmcnt(0)
	ds_store_2addr_b64 v6, v[4:5], v[2:3] offset0:144 offset1:244
	v_dual_add_f32 v2, v26, v8 :: v_dual_add_f32 v3, v1, v26
	v_dual_add_f32 v4, v22, v16 :: v_dual_add_f32 v5, v21, v15
	s_delay_alu instid0(VALU_DEP_2) | instskip(NEXT) | instid1(VALU_DEP_3)
	v_dual_fmac_f32 v1, -0.5, v2 :: v_dual_add_f32 v2, v0, v25
	v_dual_add_f32 v8, v3, v8 :: v_dual_add_f32 v3, v16, v14
	s_delay_alu instid0(VALU_DEP_3) | instskip(NEXT) | instid1(VALU_DEP_3)
	v_add_f32_e32 v11, v5, v13
	v_dual_fmamk_f32 v17, v7, 0x3f5db3d7, v1 :: v_dual_add_f32 v6, v2, v18
	v_add_f32_e32 v2, v25, v18
	scratch_load_b32 v18, off, off offset:304 ; 4-byte Folded Reload
	v_dual_fmac_f32 v22, -0.5, v3 :: v_dual_add_f32 v3, v15, v13
	v_add_f32_e32 v13, v4, v14
	v_fma_f32 v0, -0.5, v2, v0
	v_add_f32_e32 v2, v6, v11
	v_fmac_f32_e32 v1, 0xbf5db3d7, v7
	v_fmac_f32_e32 v21, -0.5, v3
	v_fmamk_f32 v3, v10, 0x3f5db3d7, v22
	v_fmamk_f32 v16, v9, 0xbf5db3d7, v0
	v_fmac_f32_e32 v22, 0xbf5db3d7, v10
	v_fmac_f32_e32 v0, 0x3f5db3d7, v9
	s_delay_alu instid0(VALU_DEP_4) | instskip(SKIP_3) | instid1(VALU_DEP_2)
	v_mul_f32_e32 v14, 0xbf5db3d7, v3
	v_mul_f32_e32 v15, 0.5, v3
	v_fmamk_f32 v3, v12, 0xbf5db3d7, v21
	v_fmac_f32_e32 v21, 0x3f5db3d7, v12
	v_dual_mul_f32 v7, -0.5, v22 :: v_dual_fmac_f32 v14, 0.5, v3
	s_delay_alu instid0(VALU_DEP_4) | instskip(SKIP_1) | instid1(VALU_DEP_3)
	v_fmac_f32_e32 v15, 0x3f5db3d7, v3
	v_add_f32_e32 v3, v8, v13
	v_dual_fmac_f32 v7, 0x3f5db3d7, v21 :: v_dual_add_f32 v4, v16, v14
	s_delay_alu instid0(VALU_DEP_3)
	v_add_f32_e32 v5, v17, v15
	s_waitcnt vmcnt(0)
	ds_store_2addr_b64 v18, v[2:3], v[4:5] offset1:100
	v_sub_f32_e32 v3, v8, v13
	scratch_load_b32 v8, off, off offset:296 ; 4-byte Folded Reload
	v_sub_f32_e32 v2, v6, v11
	v_dual_mul_f32 v6, 0xbf5db3d7, v22 :: v_dual_add_f32 v5, v1, v7
	s_delay_alu instid0(VALU_DEP_1) | instskip(NEXT) | instid1(VALU_DEP_1)
	v_dual_sub_f32 v1, v1, v7 :: v_dual_fmac_f32 v6, -0.5, v21
	v_add_f32_e32 v4, v0, v6
	v_sub_f32_e32 v0, v0, v6
	s_waitcnt vmcnt(0)
	ds_store_2addr_b64 v8, v[4:5], v[2:3] offset0:72 offset1:172
	scratch_load_b32 v4, off, off offset:292 ; 4-byte Folded Reload
	v_dual_sub_f32 v2, v16, v14 :: v_dual_sub_f32 v3, v17, v15
	s_waitcnt vmcnt(0)
	ds_store_2addr_b64 v4, v[2:3], v[0:1] offset0:144 offset1:244
	s_waitcnt lgkmcnt(0)
	s_barrier
	buffer_gl0_inv
	ds_load_2addr_b64 v[0:3], v248 offset0:48 offset1:168
	s_waitcnt lgkmcnt(0)
	v_dual_mul_f32 v25, v197, v1 :: v_dual_mul_f32 v14, v203, v3
	s_delay_alu instid0(VALU_DEP_1) | instskip(SKIP_1) | instid1(VALU_DEP_3)
	v_fmac_f32_e32 v25, v196, v0
	v_mul_f32_e32 v0, v197, v0
	v_fmac_f32_e32 v14, v202, v2
	s_delay_alu instid0(VALU_DEP_2) | instskip(SKIP_1) | instid1(VALU_DEP_1)
	v_fma_f32 v26, v196, v1, -v0
	v_mul_f32_e32 v0, v203, v2
	v_fma_f32 v12, v202, v3, -v0
	ds_load_2addr_b64 v[0:3], v179 offset0:32 offset1:152
	s_waitcnt lgkmcnt(0)
	v_dual_mul_f32 v17, v194, v1 :: v_dual_mul_f32 v10, v199, v3
	s_delay_alu instid0(VALU_DEP_1) | instskip(SKIP_1) | instid1(VALU_DEP_3)
	v_fmac_f32_e32 v17, v193, v0
	v_mul_f32_e32 v0, v194, v0
	v_fmac_f32_e32 v10, v198, v2
	s_delay_alu instid0(VALU_DEP_2) | instskip(SKIP_1) | instid1(VALU_DEP_1)
	v_fma_f32 v20, v193, v1, -v0
	v_mul_f32_e32 v0, v199, v2
	v_fma_f32 v11, v198, v3, -v0
	ds_load_2addr_b64 v[0:3], v170 offset0:64 offset1:184
	s_waitcnt lgkmcnt(0)
	v_dual_mul_f32 v6, v201, v3 :: v_dual_mul_f32 v13, v127, v1
	s_delay_alu instid0(VALU_DEP_1) | instskip(NEXT) | instid1(VALU_DEP_2)
	v_fmac_f32_e32 v6, v200, v2
	v_dual_mul_f32 v2, v201, v2 :: v_dual_fmac_f32 v13, v126, v0
	v_mul_f32_e32 v0, v127, v0
	s_delay_alu instid0(VALU_DEP_2) | instskip(NEXT) | instid1(VALU_DEP_2)
	v_fma_f32 v7, v200, v3, -v2
	v_fma_f32 v18, v126, v1, -v0
	ds_load_2addr_b64 v[0:3], v169 offset0:112 offset1:232
	s_waitcnt lgkmcnt(0)
	v_mul_f32_e32 v16, v125, v3
	v_mul_f32_e32 v28, v121, v1
	s_delay_alu instid0(VALU_DEP_2) | instskip(SKIP_1) | instid1(VALU_DEP_3)
	v_fmac_f32_e32 v16, v124, v2
	v_mul_f32_e32 v2, v125, v2
	v_fmac_f32_e32 v28, v120, v0
	v_mul_f32_e32 v0, v121, v0
	s_delay_alu instid0(VALU_DEP_3) | instskip(NEXT) | instid1(VALU_DEP_2)
	v_fma_f32 v15, v124, v3, -v2
	v_fma_f32 v27, v120, v1, -v0
	ds_load_2addr_b64 v[0:3], v176 offset0:80 offset1:200
	s_waitcnt lgkmcnt(0)
	v_mul_f32_e32 v29, v123, v3
	v_mul_f32_e32 v33, v115, v1
	s_delay_alu instid0(VALU_DEP_2) | instskip(NEXT) | instid1(VALU_DEP_2)
	v_fmac_f32_e32 v29, v122, v2
	v_dual_mul_f32 v2, v123, v2 :: v_dual_fmac_f32 v33, v114, v0
	v_mul_f32_e32 v0, v115, v0
	s_delay_alu instid0(VALU_DEP_2) | instskip(NEXT) | instid1(VALU_DEP_2)
	v_fma_f32 v30, v122, v3, -v2
	v_fma_f32 v34, v114, v1, -v0
	ds_load_2addr_b64 v[0:3], v175 offset0:128 offset1:248
	s_waitcnt lgkmcnt(0)
	v_mul_f32_e32 v39, v113, v3
	s_delay_alu instid0(VALU_DEP_1) | instskip(SKIP_1) | instid1(VALU_DEP_2)
	v_dual_mul_f32 v42, v97, v1 :: v_dual_fmac_f32 v39, v112, v2
	v_mul_f32_e32 v2, v113, v2
	v_fmac_f32_e32 v42, v96, v0
	v_mul_f32_e32 v0, v97, v0
	s_delay_alu instid0(VALU_DEP_3) | instskip(NEXT) | instid1(VALU_DEP_2)
	v_fma_f32 v40, v112, v3, -v2
	v_fma_f32 v41, v96, v1, -v0
	ds_load_2addr_b64 v[0:3], v173 offset0:96 offset1:216
	s_waitcnt lgkmcnt(0)
	v_mul_f32_e32 v45, v99, v3
	s_delay_alu instid0(VALU_DEP_1) | instskip(SKIP_1) | instid1(VALU_DEP_2)
	v_dual_mul_f32 v8, v95, v1 :: v_dual_fmac_f32 v45, v98, v2
	v_mul_f32_e32 v2, v99, v2
	v_fmac_f32_e32 v8, v94, v0
	v_mul_f32_e32 v0, v95, v0
	s_delay_alu instid0(VALU_DEP_3) | instskip(NEXT) | instid1(VALU_DEP_2)
	v_fma_f32 v46, v98, v3, -v2
	v_fma_f32 v9, v94, v1, -v0
	ds_load_2addr_b64 v[0:3], v172 offset0:16 offset1:136
	s_waitcnt lgkmcnt(0)
	v_mul_f32_e32 v55, v93, v3
	v_mul_f32_e32 v23, v119, v1
	s_delay_alu instid0(VALU_DEP_2) | instskip(NEXT) | instid1(VALU_DEP_2)
	v_fmac_f32_e32 v55, v92, v2
	v_dual_mul_f32 v2, v93, v2 :: v_dual_fmac_f32 v23, v118, v0
	v_mul_f32_e32 v0, v119, v0
	s_delay_alu instid0(VALU_DEP_2) | instskip(NEXT) | instid1(VALU_DEP_2)
	v_fma_f32 v56, v92, v3, -v2
	v_fma_f32 v24, v118, v1, -v0
	ds_load_2addr_b64 v[0:3], v171 offset0:64 offset1:184
	s_waitcnt lgkmcnt(0)
	v_mul_f32_e32 v21, v117, v3
	v_mul_f32_e32 v31, v109, v1
	s_delay_alu instid0(VALU_DEP_2) | instskip(NEXT) | instid1(VALU_DEP_2)
	v_fmac_f32_e32 v21, v116, v2
	v_dual_mul_f32 v2, v117, v2 :: v_dual_fmac_f32 v31, v108, v0
	v_mul_f32_e32 v0, v109, v0
	s_delay_alu instid0(VALU_DEP_2) | instskip(NEXT) | instid1(VALU_DEP_2)
	;; [unrolled: 11-line block ×5, first 2 shown]
	v_fma_f32 v50, v82, v3, -v2
	v_fma_f32 v58, v66, v1, -v0
	ds_load_2addr_b64 v[0:3], v247 offset0:96 offset1:216
	s_waitcnt lgkmcnt(0)
	v_mul_f32_e32 v59, v65, v3
	s_delay_alu instid0(VALU_DEP_1) | instskip(SKIP_1) | instid1(VALU_DEP_1)
	v_fmac_f32_e32 v59, v64, v2
	v_mul_f32_e32 v2, v65, v2
	v_fma_f32 v60, v64, v3, -v2
	ds_load_2addr_b64 v[2:5], v19 offset1:120
	s_waitcnt lgkmcnt(0)
	v_add_f32_e32 v51, v2, v57
	s_delay_alu instid0(VALU_DEP_1) | instskip(SKIP_1) | instid1(VALU_DEP_1)
	v_add_f32_e32 v53, v51, v8
	v_add_f32_e32 v51, v3, v58
	;; [unrolled: 1-line block ×4, first 2 shown]
	s_delay_alu instid0(VALU_DEP_1) | instskip(SKIP_1) | instid1(VALU_DEP_1)
	v_add_f32_e32 v61, v51, v6
	v_add_f32_e32 v51, v60, v56
	v_dual_add_f32 v62, v51, v7 :: v_dual_add_f32 v51, v53, v61
	v_sub_f32_e32 v53, v53, v61
	v_add_f32_e32 v61, v58, v9
	v_dual_sub_f32 v9, v58, v9 :: v_dual_add_f32 v58, v56, v7
	s_delay_alu instid0(VALU_DEP_4) | instskip(SKIP_1) | instid1(VALU_DEP_4)
	v_dual_sub_f32 v7, v56, v7 :: v_dual_add_f32 v52, v54, v62
	v_sub_f32_e32 v54, v54, v62
	v_fma_f32 v61, -0.5, v61, v3
	s_delay_alu instid0(VALU_DEP_4) | instskip(SKIP_2) | instid1(VALU_DEP_2)
	v_fmac_f32_e32 v60, -0.5, v58
	v_add_f32_e32 v58, v55, v6
	v_dual_sub_f32 v6, v55, v6 :: v_dual_add_f32 v55, v57, v8
	v_dual_sub_f32 v8, v57, v8 :: v_dual_fmac_f32 v59, -0.5, v58
	s_delay_alu instid0(VALU_DEP_2) | instskip(SKIP_1) | instid1(VALU_DEP_4)
	v_fmamk_f32 v56, v6, 0x3f5db3d7, v60
	v_fmac_f32_e32 v60, 0xbf5db3d7, v6
	v_fma_f32 v62, -0.5, v55, v2
	s_delay_alu instid0(VALU_DEP_3) | instskip(SKIP_1) | instid1(VALU_DEP_4)
	v_dual_fmamk_f32 v58, v7, 0xbf5db3d7, v59 :: v_dual_mul_f32 v57, 0xbf5db3d7, v56
	v_dual_mul_f32 v56, 0.5, v56 :: v_dual_fmac_f32 v59, 0x3f5db3d7, v7
	v_mul_f32_e32 v6, 0xbf5db3d7, v60
	v_mul_f32_e32 v7, -0.5, v60
	s_delay_alu instid0(VALU_DEP_4) | instskip(NEXT) | instid1(VALU_DEP_4)
	v_fmac_f32_e32 v57, 0.5, v58
	v_fmac_f32_e32 v56, 0x3f5db3d7, v58
	v_fmamk_f32 v55, v9, 0xbf5db3d7, v62
	v_fmamk_f32 v58, v8, 0x3f5db3d7, v61
	v_fmac_f32_e32 v62, 0x3f5db3d7, v9
	v_dual_fmac_f32 v61, 0xbf5db3d7, v8 :: v_dual_fmac_f32 v6, -0.5, v59
	s_delay_alu instid0(VALU_DEP_4) | instskip(NEXT) | instid1(VALU_DEP_4)
	v_dual_fmac_f32 v7, 0x3f5db3d7, v59 :: v_dual_add_f32 v2, v55, v57
	v_add_f32_e32 v3, v58, v56
	v_dual_sub_f32 v55, v55, v57 :: v_dual_sub_f32 v56, v58, v56
	s_delay_alu instid0(VALU_DEP_3)
	v_dual_add_f32 v57, v62, v6 :: v_dual_add_f32 v58, v61, v7
	v_dual_sub_f32 v59, v62, v6 :: v_dual_sub_f32 v60, v61, v7
	ds_load_2addr_b64 v[6:9], v255 offset0:112 offset1:232
	ds_store_b64 v19, v[2:3] offset:4800
	ds_store_b64 v19, v[57:58] offset:9600
	;; [unrolled: 1-line block ×5, first 2 shown]
	v_add_f32_e32 v2, v4, v49
	s_delay_alu instid0(VALU_DEP_1) | instskip(NEXT) | instid1(VALU_DEP_1)
	v_dual_add_f32 v53, v2, v45 :: v_dual_add_f32 v2, v5, v50
	v_add_f32_e32 v54, v2, v46
	v_add_f32_e32 v2, v47, v42
	s_delay_alu instid0(VALU_DEP_1) | instskip(SKIP_1) | instid1(VALU_DEP_1)
	v_add_f32_e32 v55, v2, v25
	v_add_f32_e32 v2, v48, v41
	;; [unrolled: 1-line block ×3, first 2 shown]
	s_delay_alu instid0(VALU_DEP_1)
	v_dual_add_f32 v2, v53, v55 :: v_dual_add_f32 v3, v54, v56
	ds_store_2addr_b64 v19, v[51:52], v[2:3] offset1:120
	v_dual_sub_f32 v2, v53, v55 :: v_dual_sub_f32 v3, v54, v56
	v_dual_add_f32 v51, v44, v40 :: v_dual_add_f32 v52, v43, v39
	ds_store_b64 v19, v[2:3] offset:15360
	v_add_f32_e32 v2, v50, v46
	v_sub_f32_e32 v3, v50, v46
	v_add_f32_e32 v46, v41, v26
	s_delay_alu instid0(VALU_DEP_3) | instskip(NEXT) | instid1(VALU_DEP_2)
	v_dual_fmac_f32 v5, -0.5, v2 :: v_dual_add_f32 v2, v49, v45
	v_fmac_f32_e32 v48, -0.5, v46
	v_add_f32_e32 v46, v42, v25
	v_sub_f32_e32 v25, v42, v25
	v_sub_f32_e32 v45, v49, v45
	v_fma_f32 v4, -0.5, v2, v4
	v_sub_f32_e32 v2, v41, v26
	v_fmac_f32_e32 v47, -0.5, v46
	v_fmamk_f32 v41, v25, 0x3f5db3d7, v48
	v_fmac_f32_e32 v48, 0xbf5db3d7, v25
	v_fmamk_f32 v46, v45, 0x3f5db3d7, v5
	v_fmac_f32_e32 v5, 0xbf5db3d7, v45
	;; [unrolled: 2-line block ×3, first 2 shown]
	v_mul_f32_e32 v49, 0xbf5db3d7, v48
	v_mul_f32_e32 v48, -0.5, v48
	v_add_f32_e32 v2, v37, v33
	v_fmamk_f32 v42, v3, 0xbf5db3d7, v4
	v_fmac_f32_e32 v4, 0x3f5db3d7, v3
	v_fmac_f32_e32 v49, -0.5, v47
	v_fmac_f32_e32 v48, 0x3f5db3d7, v47
	s_waitcnt lgkmcnt(7)
	v_fma_f32 v47, -0.5, v2, v6
	s_delay_alu instid0(VALU_DEP_2) | instskip(NEXT) | instid1(VALU_DEP_1)
	v_dual_sub_f32 v2, v38, v34 :: v_dual_add_f32 v3, v5, v48
	v_fmamk_f32 v50, v2, 0xbf5db3d7, v47
	v_dual_fmac_f32 v47, 0x3f5db3d7, v2 :: v_dual_add_f32 v2, v40, v12
	s_delay_alu instid0(VALU_DEP_1) | instskip(SKIP_1) | instid1(VALU_DEP_1)
	v_fmac_f32_e32 v44, -0.5, v2
	v_add_f32_e32 v2, v39, v14
	v_fmac_f32_e32 v43, -0.5, v2
	v_add_f32_e32 v2, v38, v34
	s_delay_alu instid0(VALU_DEP_1) | instskip(SKIP_1) | instid1(VALU_DEP_1)
	v_fma_f32 v53, -0.5, v2, v7
	v_sub_f32_e32 v2, v37, v33
	v_fmamk_f32 v54, v2, 0x3f5db3d7, v53
	v_fmac_f32_e32 v53, 0xbf5db3d7, v2
	v_sub_f32_e32 v2, v39, v14
	s_delay_alu instid0(VALU_DEP_1) | instskip(SKIP_3) | instid1(VALU_DEP_2)
	v_dual_add_f32 v14, v52, v14 :: v_dual_fmamk_f32 v39, v2, 0x3f5db3d7, v44
	v_fmac_f32_e32 v44, 0xbf5db3d7, v2
	v_sub_f32_e32 v2, v40, v12
	v_add_f32_e32 v12, v51, v12
	v_dual_mul_f32 v55, 0xbf5db3d7, v44 :: v_dual_fmamk_f32 v40, v2, 0xbf5db3d7, v43
	v_dual_fmac_f32 v43, 0x3f5db3d7, v2 :: v_dual_mul_f32 v44, -0.5, v44
	s_delay_alu instid0(VALU_DEP_1) | instskip(NEXT) | instid1(VALU_DEP_2)
	v_dual_add_f32 v2, v4, v49 :: v_dual_fmac_f32 v55, -0.5, v43
	v_fmac_f32_e32 v44, 0x3f5db3d7, v43
	v_add_nc_u32_e32 v43, 0x2800, v19
	s_delay_alu instid0(VALU_DEP_2) | instskip(SKIP_3) | instid1(VALU_DEP_2)
	v_dual_add_f32 v25, v47, v55 :: v_dual_add_f32 v26, v53, v44
	ds_store_2addr_b64 v43, v[2:3], v[25:26] offset0:40 offset1:160
	v_mul_f32_e32 v43, 0xbf5db3d7, v41
	v_mul_f32_e32 v41, 0.5, v41
	v_fmac_f32_e32 v43, 0.5, v45
	s_delay_alu instid0(VALU_DEP_2) | instskip(SKIP_2) | instid1(VALU_DEP_4)
	v_fmac_f32_e32 v41, 0x3f5db3d7, v45
	v_mul_f32_e32 v45, 0xbf5db3d7, v39
	v_mul_f32_e32 v39, 0.5, v39
	v_sub_f32_e32 v2, v42, v43
	s_delay_alu instid0(VALU_DEP_4) | instskip(NEXT) | instid1(VALU_DEP_4)
	v_sub_f32_e32 v3, v46, v41
	v_fmac_f32_e32 v45, 0.5, v40
	s_delay_alu instid0(VALU_DEP_4) | instskip(NEXT) | instid1(VALU_DEP_2)
	v_fmac_f32_e32 v39, 0x3f5db3d7, v40
	v_dual_sub_f32 v25, v50, v45 :: v_dual_add_nc_u32 v40, 0x4c00, v19
	s_delay_alu instid0(VALU_DEP_2)
	v_sub_f32_e32 v26, v54, v39
	ds_store_2addr_b64 v40, v[2:3], v[25:26] offset0:88 offset1:208
	v_add_f32_e32 v2, v42, v43
	v_add_f32_e32 v3, v46, v41
	;; [unrolled: 1-line block ×4, first 2 shown]
	ds_store_2addr_b64 v166, v[2:3], v[25:26] offset0:80 offset1:200
	v_dual_sub_f32 v3, v5, v48 :: v_dual_sub_f32 v2, v4, v49
	v_dual_sub_f32 v4, v47, v55 :: v_dual_sub_f32 v5, v53, v44
	ds_store_2addr_b64 v248, v[2:3], v[4:5] offset0:48 offset1:168
	v_add_f32_e32 v2, v6, v37
	s_delay_alu instid0(VALU_DEP_1) | instskip(SKIP_1) | instid1(VALU_DEP_1)
	v_add_f32_e32 v6, v2, v33
	v_add_f32_e32 v2, v7, v38
	v_dual_add_f32 v7, v2, v34 :: v_dual_add_f32 v2, v8, v35
	s_delay_alu instid0(VALU_DEP_1) | instskip(NEXT) | instid1(VALU_DEP_2)
	v_add_f32_e32 v3, v7, v12
	v_dual_add_f32 v25, v2, v29 :: v_dual_add_f32 v2, v9, v36
	s_delay_alu instid0(VALU_DEP_1) | instskip(SKIP_1) | instid1(VALU_DEP_1)
	v_add_f32_e32 v26, v2, v30
	v_add_f32_e32 v2, v31, v28
	v_dual_add_f32 v33, v2, v17 :: v_dual_add_f32 v2, v32, v27
	s_delay_alu instid0(VALU_DEP_1) | instskip(NEXT) | instid1(VALU_DEP_2)
	v_add_f32_e32 v4, v25, v33
	v_add_f32_e32 v34, v2, v20
	;; [unrolled: 1-line block ×3, first 2 shown]
	s_delay_alu instid0(VALU_DEP_2)
	v_add_f32_e32 v5, v26, v34
	ds_store_2addr_b64 v255, v[2:3], v[4:5] offset0:112 offset1:232
	v_sub_f32_e32 v2, v6, v14
	v_add_f32_e32 v6, v36, v30
	v_add_f32_e32 v14, v27, v20
	v_sub_f32_e32 v3, v7, v12
	v_dual_sub_f32 v12, v35, v29 :: v_dual_sub_f32 v5, v26, v34
	s_delay_alu instid0(VALU_DEP_4) | instskip(NEXT) | instid1(VALU_DEP_4)
	v_dual_fmac_f32 v9, -0.5, v6 :: v_dual_add_f32 v6, v35, v29
	v_fmac_f32_e32 v32, -0.5, v14
	v_add_f32_e32 v14, v28, v17
	v_sub_f32_e32 v17, v28, v17
	v_sub_f32_e32 v7, v36, v30
	v_fma_f32 v8, -0.5, v6, v8
	s_delay_alu instid0(VALU_DEP_4) | instskip(NEXT) | instid1(VALU_DEP_4)
	v_dual_sub_f32 v6, v27, v20 :: v_dual_fmac_f32 v31, -0.5, v14
	v_fmamk_f32 v14, v17, 0x3f5db3d7, v32
	v_fmac_f32_e32 v32, 0xbf5db3d7, v17
	v_fmamk_f32 v17, v12, 0x3f5db3d7, v9
	v_fmac_f32_e32 v9, 0xbf5db3d7, v12
	;; [unrolled: 2-line block ×3, first 2 shown]
	v_mul_f32_e32 v20, 0xbf5db3d7, v32
	v_mul_f32_e32 v26, -0.5, v32
	v_dual_sub_f32 v4, v25, v33 :: v_dual_fmamk_f32 v25, v7, 0xbf5db3d7, v8
	v_fmac_f32_e32 v8, 0x3f5db3d7, v7
	s_delay_alu instid0(VALU_DEP_4) | instskip(NEXT) | instid1(VALU_DEP_4)
	v_fmac_f32_e32 v20, -0.5, v31
	v_fmac_f32_e32 v26, 0x3f5db3d7, v31
	s_delay_alu instid0(VALU_DEP_1)
	v_dual_add_f32 v6, v8, v20 :: v_dual_add_f32 v7, v9, v26
	ds_store_b64 v19, v[6:7] offset:12480
	v_dual_mul_f32 v7, 0.5, v14 :: v_dual_add_nc_u32 v6, 0x3c00, v19
	ds_store_2addr_b64 v6, v[2:3], v[4:5] offset0:120 offset1:240
	v_mul_f32_e32 v6, 0xbf5db3d7, v14
	v_fmac_f32_e32 v7, 0x3f5db3d7, v12
	v_dual_sub_f32 v3, v9, v26 :: v_dual_sub_f32 v2, v8, v20
	v_sub_f32_e32 v14, v24, v18
	s_delay_alu instid0(VALU_DEP_3) | instskip(SKIP_1) | instid1(VALU_DEP_2)
	v_dual_fmac_f32 v6, 0.5, v12 :: v_dual_sub_f32 v5, v17, v7
	v_add_f32_e32 v7, v17, v7
	v_sub_f32_e32 v4, v25, v6
	ds_store_b64 v19, v[2:3] offset:26880
	ds_store_b64 v19, v[4:5] offset:22080
	v_add_f32_e32 v2, v0, v23
	s_delay_alu instid0(VALU_DEP_1) | instskip(SKIP_1) | instid1(VALU_DEP_1)
	v_dual_add_f32 v6, v25, v6 :: v_dual_add_f32 v5, v2, v13
	v_add_f32_e32 v2, v1, v24
	v_add_f32_e32 v8, v2, v18
	v_add_f32_e32 v2, v21, v16
	s_delay_alu instid0(VALU_DEP_1) | instskip(SKIP_1) | instid1(VALU_DEP_1)
	v_add_f32_e32 v9, v2, v10
	v_add_f32_e32 v2, v22, v15
	;; [unrolled: 1-line block ×3, first 2 shown]
	s_delay_alu instid0(VALU_DEP_3) | instskip(SKIP_1) | instid1(VALU_DEP_3)
	v_add_f32_e32 v2, v5, v9
	v_sub_f32_e32 v5, v5, v9
	v_add_f32_e32 v3, v8, v12
	ds_store_b64 v19, v[2:3] offset:3840
	v_dual_add_f32 v2, v24, v18 :: v_dual_add_f32 v3, v23, v13
	v_sub_f32_e32 v4, v16, v10
	s_delay_alu instid0(VALU_DEP_2) | instskip(SKIP_1) | instid1(VALU_DEP_4)
	v_dual_fmac_f32 v1, -0.5, v2 :: v_dual_add_f32 v2, v15, v11
	v_sub_f32_e32 v11, v15, v11
	v_fma_f32 v0, -0.5, v3, v0
	s_delay_alu instid0(VALU_DEP_3) | instskip(SKIP_2) | instid1(VALU_DEP_4)
	v_fmac_f32_e32 v22, -0.5, v2
	v_add_f32_e32 v2, v16, v10
	v_sub_f32_e32 v10, v23, v13
	v_fmamk_f32 v16, v14, 0xbf5db3d7, v0
	v_fmac_f32_e32 v0, 0x3f5db3d7, v14
	s_delay_alu instid0(VALU_DEP_4) | instskip(NEXT) | instid1(VALU_DEP_4)
	v_dual_fmac_f32 v21, -0.5, v2 :: v_dual_fmamk_f32 v2, v4, 0x3f5db3d7, v22
	v_fmamk_f32 v17, v10, 0x3f5db3d7, v1
	v_dual_fmac_f32 v22, 0xbf5db3d7, v4 :: v_dual_fmac_f32 v1, 0xbf5db3d7, v10
	s_delay_alu instid0(VALU_DEP_3) | instskip(NEXT) | instid1(VALU_DEP_4)
	v_mul_f32_e32 v13, 0xbf5db3d7, v2
	v_dual_mul_f32 v15, 0.5, v2 :: v_dual_fmamk_f32 v2, v11, 0xbf5db3d7, v21
	v_fmac_f32_e32 v21, 0x3f5db3d7, v11
	s_delay_alu instid0(VALU_DEP_2) | instskip(NEXT) | instid1(VALU_DEP_1)
	v_fmac_f32_e32 v13, 0.5, v2
	v_dual_fmac_f32 v15, 0x3f5db3d7, v2 :: v_dual_add_f32 v2, v16, v13
	s_delay_alu instid0(VALU_DEP_1) | instskip(SKIP_3) | instid1(VALU_DEP_2)
	v_add_f32_e32 v3, v17, v15
	ds_store_2addr_b64 v171, v[6:7], v[2:3] offset0:64 offset1:184
	v_dual_mul_f32 v3, -0.5, v22 :: v_dual_sub_f32 v6, v8, v12
	v_dual_sub_f32 v7, v16, v13 :: v_dual_sub_f32 v8, v17, v15
	v_fmac_f32_e32 v3, 0x3f5db3d7, v21
	s_delay_alu instid0(VALU_DEP_1) | instskip(SKIP_1) | instid1(VALU_DEP_1)
	v_add_f32_e32 v2, v1, v3
	v_dual_sub_f32 v4, v1, v3 :: v_dual_mul_f32 v3, 0xbf5db3d7, v22
	v_fmac_f32_e32 v3, -0.5, v21
	s_delay_alu instid0(VALU_DEP_1)
	v_add_f32_e32 v1, v0, v3
	v_sub_f32_e32 v3, v0, v3
	ds_store_b64 v19, v[1:2] offset:13440
	ds_store_b64 v19, v[5:6] offset:18240
	;; [unrolled: 1-line block ×4, first 2 shown]
	s_waitcnt lgkmcnt(0)
	s_barrier
	buffer_gl0_inv
	scratch_load_b64 v[5:6], off, off offset:236 ; 8-byte Folded Reload
	ds_load_2addr_b64 v[1:4], v19 offset1:120
	scratch_load_b64 v[9:10], off, off offset:188 ; 8-byte Folded Reload
	ds_load_2addr_b64 v[14:17], v167 offset0:32 offset1:152
	s_clause 0x1
	scratch_load_b64 v[20:21], off, off offset:172
	scratch_load_b32 v66, off, off offset:244
	s_waitcnt vmcnt(3) lgkmcnt(1)
	v_mul_f32_e32 v0, v6, v2
	s_delay_alu instid0(VALU_DEP_1) | instskip(SKIP_1) | instid1(VALU_DEP_1)
	v_fmac_f32_e32 v0, v5, v1
	v_mul_f32_e32 v1, v6, v1
	v_fma_f32 v1, v5, v2, -v1
	scratch_load_b64 v[5:6], off, off offset:204 ; 8-byte Folded Reload
	s_waitcnt vmcnt(0)
	v_mul_f32_e32 v2, v6, v4
	s_delay_alu instid0(VALU_DEP_1) | instskip(SKIP_1) | instid1(VALU_DEP_1)
	v_fmac_f32_e32 v2, v5, v3
	v_mul_f32_e32 v3, v6, v3
	v_fma_f32 v4, v5, v4, -v3
	ds_load_2addr_b64 v[5:8], v166 offset0:80 offset1:200
	s_waitcnt lgkmcnt(0)
	v_mul_f32_e32 v12, v10, v6
	v_mul_f32_e32 v3, v10, v5
	s_delay_alu instid0(VALU_DEP_2) | instskip(NEXT) | instid1(VALU_DEP_2)
	v_fmac_f32_e32 v12, v9, v5
	v_fma_f32 v13, v9, v6, -v3
	scratch_load_b64 v[9:10], off, off offset:228 ; 8-byte Folded Reload
	s_waitcnt vmcnt(0)
	v_mul_f32_e32 v3, v10, v8
	v_mul_f32_e32 v5, v10, v7
	s_delay_alu instid0(VALU_DEP_2) | instskip(NEXT) | instid1(VALU_DEP_2)
	v_fmac_f32_e32 v3, v9, v7
	v_fma_f32 v5, v9, v8, -v5
	scratch_load_b64 v[7:8], off, off offset:180 ; 8-byte Folded Reload
	s_waitcnt vmcnt(0)
	;; [unrolled: 7-line block ×3, first 2 shown]
	v_mul_f32_e32 v6, v15, v17
	v_mul_f32_e32 v7, v15, v16
	s_delay_alu instid0(VALU_DEP_2) | instskip(NEXT) | instid1(VALU_DEP_2)
	v_fmac_f32_e32 v6, v14, v16
	v_fma_f32 v7, v14, v17, -v7
	ds_load_2addr_b64 v[16:19], v169 offset0:112 offset1:232
	s_waitcnt lgkmcnt(0)
	v_mul_f32_e32 v15, v21, v17
	v_mul_f32_e32 v8, v21, v16
	s_delay_alu instid0(VALU_DEP_2) | instskip(NEXT) | instid1(VALU_DEP_2)
	v_fmac_f32_e32 v15, v20, v16
	v_fma_f32 v16, v20, v17, -v8
	scratch_load_b64 v[20:21], off, off offset:220 ; 8-byte Folded Reload
	s_waitcnt vmcnt(0)
	v_mul_f32_e32 v8, v21, v19
	v_mul_f32_e32 v10, v21, v18
	scratch_load_b64 v[21:22], off, off offset:164 ; 8-byte Folded Reload
	v_fmac_f32_e32 v8, v20, v18
	v_fma_f32 v10, v20, v19, -v10
	ds_load_2addr_b64 v[17:20], v170 offset0:64 offset1:184
	s_waitcnt vmcnt(0) lgkmcnt(0)
	v_mul_f32_e32 v26, v22, v18
	v_mul_f32_e32 v14, v22, v17
	s_delay_alu instid0(VALU_DEP_2) | instskip(NEXT) | instid1(VALU_DEP_2)
	v_fmac_f32_e32 v26, v21, v17
	v_fma_f32 v27, v21, v18, -v14
	scratch_load_b64 v[21:22], off, off offset:212 ; 8-byte Folded Reload
	s_waitcnt vmcnt(0)
	v_mul_f32_e32 v14, v22, v20
	v_mul_f32_e32 v17, v22, v19
	scratch_load_b64 v[22:23], off, off offset:44 ; 8-byte Folded Reload
	v_fmac_f32_e32 v14, v21, v19
	v_fma_f32 v17, v21, v20, -v17
	ds_load_2addr_b64 v[18:21], v255 offset0:112 offset1:232
	s_waitcnt vmcnt(0) lgkmcnt(0)
	v_mul_f32_e32 v24, v23, v21
	s_delay_alu instid0(VALU_DEP_1) | instskip(SKIP_1) | instid1(VALU_DEP_1)
	v_fmac_f32_e32 v24, v22, v20
	v_mul_f32_e32 v20, v23, v20
	v_fma_f32 v25, v22, v21, -v20
	s_clause 0x1
	scratch_load_b64 v[20:21], off, off offset:196
	scratch_load_b64 v[22:23], off, off offset:60
	s_waitcnt vmcnt(1)
	v_mul_f32_e32 v28, v21, v19
	s_delay_alu instid0(VALU_DEP_1) | instskip(SKIP_1) | instid1(VALU_DEP_1)
	v_fmac_f32_e32 v28, v20, v18
	v_mul_f32_e32 v18, v21, v18
	v_fma_f32 v29, v20, v19, -v18
	ds_load_2addr_b64 v[18:21], v247 offset0:96 offset1:216
	s_waitcnt vmcnt(0) lgkmcnt(0)
	v_mul_f32_e32 v30, v23, v19
	s_delay_alu instid0(VALU_DEP_1) | instskip(SKIP_1) | instid1(VALU_DEP_1)
	v_fmac_f32_e32 v30, v22, v18
	v_mul_f32_e32 v18, v23, v18
	v_fma_f32 v31, v22, v19, -v18
	scratch_load_b64 v[22:23], off, off offset:140 ; 8-byte Folded Reload
	s_waitcnt vmcnt(0)
	v_mul_f32_e32 v32, v23, v21
	v_mul_f32_e32 v18, v23, v20
	s_delay_alu instid0(VALU_DEP_2) | instskip(NEXT) | instid1(VALU_DEP_2)
	v_fmac_f32_e32 v32, v22, v20
	v_fma_f32 v33, v22, v21, -v18
	scratch_load_b64 v[22:23], off, off offset:36 ; 8-byte Folded Reload
	ds_load_2addr_b64 v[18:21], v171 offset0:64 offset1:184
	s_waitcnt vmcnt(0) lgkmcnt(0)
	v_mul_f32_e32 v34, v23, v21
	s_delay_alu instid0(VALU_DEP_1) | instskip(SKIP_1) | instid1(VALU_DEP_1)
	v_fmac_f32_e32 v34, v22, v20
	v_mul_f32_e32 v20, v23, v20
	v_fma_f32 v35, v22, v21, -v20
	s_clause 0x1
	scratch_load_b64 v[20:21], off, off offset:156
	scratch_load_b64 v[22:23], off, off offset:84
	s_waitcnt vmcnt(1)
	v_mul_f32_e32 v36, v21, v19
	s_delay_alu instid0(VALU_DEP_1) | instskip(SKIP_1) | instid1(VALU_DEP_1)
	v_fmac_f32_e32 v36, v20, v18
	v_mul_f32_e32 v18, v21, v18
	v_fma_f32 v37, v20, v19, -v18
	ds_load_2addr_b64 v[18:21], v178 offset0:48 offset1:168
	s_waitcnt vmcnt(0) lgkmcnt(0)
	v_mul_f32_e32 v38, v23, v19
	s_delay_alu instid0(VALU_DEP_1) | instskip(SKIP_1) | instid1(VALU_DEP_1)
	v_fmac_f32_e32 v38, v22, v18
	v_mul_f32_e32 v18, v23, v18
	v_fma_f32 v39, v22, v19, -v18
	scratch_load_b64 v[22:23], off, off offset:100 ; 8-byte Folded Reload
	s_waitcnt vmcnt(0)
	v_mul_f32_e32 v40, v23, v21
	v_mul_f32_e32 v18, v23, v20
	s_delay_alu instid0(VALU_DEP_2) | instskip(NEXT) | instid1(VALU_DEP_2)
	v_fmac_f32_e32 v40, v22, v20
	v_fma_f32 v41, v22, v21, -v18
	scratch_load_b64 v[22:23], off, off offset:28 ; 8-byte Folded Reload
	;; [unrolled: 31-line block ×3, first 2 shown]
	ds_load_2addr_b64 v[18:21], v173 offset0:96 offset1:216
	s_waitcnt vmcnt(0) lgkmcnt(0)
	v_mul_f32_e32 v50, v23, v21
	s_delay_alu instid0(VALU_DEP_1) | instskip(SKIP_1) | instid1(VALU_DEP_1)
	v_fmac_f32_e32 v50, v22, v20
	v_mul_f32_e32 v20, v23, v20
	v_fma_f32 v51, v22, v21, -v20
	s_clause 0x1
	scratch_load_b64 v[20:21], off, off offset:92
	scratch_load_b64 v[22:23], off, off offset:108
	s_waitcnt vmcnt(1)
	v_mul_f32_e32 v52, v21, v19
	s_delay_alu instid0(VALU_DEP_1) | instskip(SKIP_1) | instid1(VALU_DEP_1)
	v_fmac_f32_e32 v52, v20, v18
	v_mul_f32_e32 v18, v21, v18
	v_fma_f32 v53, v20, v19, -v18
	ds_load_2addr_b64 v[18:21], v176 offset0:80 offset1:200
	s_waitcnt vmcnt(0) lgkmcnt(0)
	v_mul_f32_e32 v54, v23, v19
	s_delay_alu instid0(VALU_DEP_1) | instskip(SKIP_1) | instid1(VALU_DEP_1)
	v_fmac_f32_e32 v54, v22, v18
	v_mul_f32_e32 v18, v23, v18
	v_fma_f32 v55, v22, v19, -v18
	scratch_load_b64 v[18:19], off, off offset:116 ; 8-byte Folded Reload
	s_waitcnt vmcnt(0)
	v_mul_f32_e32 v56, v19, v21
	v_dual_mov_b32 v23, v19 :: v_dual_mov_b32 v22, v18
	s_delay_alu instid0(VALU_DEP_2) | instskip(NEXT) | instid1(VALU_DEP_2)
	v_fmac_f32_e32 v56, v18, v20
	v_mul_f32_e32 v18, v23, v20
	s_delay_alu instid0(VALU_DEP_1) | instskip(SKIP_4) | instid1(VALU_DEP_1)
	v_fma_f32 v57, v22, v21, -v18
	scratch_load_b64 v[22:23], off, off offset:12 ; 8-byte Folded Reload
	ds_load_2addr_b64 v[18:21], v248 offset0:48 offset1:168
	s_waitcnt vmcnt(0) lgkmcnt(0)
	v_mul_f32_e32 v58, v23, v21
	v_fmac_f32_e32 v58, v22, v20
	v_mul_f32_e32 v20, v23, v20
	s_delay_alu instid0(VALU_DEP_1)
	v_fma_f32 v59, v22, v21, -v20
	s_clause 0x1
	scratch_load_b64 v[20:21], off, off offset:52
	scratch_load_b64 v[22:23], off, off offset:68
	s_waitcnt vmcnt(1)
	v_mul_f32_e32 v60, v21, v19
	s_delay_alu instid0(VALU_DEP_1) | instskip(SKIP_1) | instid1(VALU_DEP_1)
	v_fmac_f32_e32 v60, v20, v18
	v_mul_f32_e32 v18, v21, v18
	v_fma_f32 v61, v20, v19, -v18
	ds_load_2addr_b64 v[18:21], v179 offset0:32 offset1:152
	s_waitcnt vmcnt(0) lgkmcnt(0)
	v_mul_f32_e32 v62, v23, v19
	s_delay_alu instid0(VALU_DEP_1) | instskip(SKIP_1) | instid1(VALU_DEP_1)
	v_fmac_f32_e32 v62, v22, v18
	v_mul_f32_e32 v18, v23, v18
	v_fma_f32 v63, v22, v19, -v18
	scratch_load_b64 v[22:23], off, off offset:76 ; 8-byte Folded Reload
	s_waitcnt vmcnt(0)
	v_mul_f32_e32 v64, v23, v21
	v_mul_f32_e32 v18, v23, v20
	s_delay_alu instid0(VALU_DEP_2) | instskip(NEXT) | instid1(VALU_DEP_2)
	v_fmac_f32_e32 v64, v22, v20
	v_fma_f32 v65, v22, v21, -v18
	scratch_load_b64 v[22:23], off, off     ; 8-byte Folded Reload
	s_waitcnt vmcnt(0)
	v_mad_u64_u32 v[18:19], null, s6, v22, 0
	s_mul_i32 s6, s5, 0xffff9e80
	s_delay_alu instid0(SALU_CYCLE_1) | instskip(NEXT) | instid1(VALU_DEP_1)
	s_sub_i32 s6, s6, s4
	v_mad_u64_u32 v[20:21], null, s7, v22, v[19:20]
	s_delay_alu instid0(VALU_DEP_1) | instskip(SKIP_2) | instid1(VALU_DEP_2)
	v_mov_b32_e32 v19, v20
	v_cvt_f64_f32_e32 v[20:21], v0
	v_cvt_f64_f32_e32 v[0:1], v1
	v_mul_f64 v[20:21], v[20:21], s[2:3]
	s_delay_alu instid0(VALU_DEP_2) | instskip(NEXT) | instid1(VALU_DEP_2)
	v_mul_f64 v[0:1], v[0:1], s[2:3]
	v_cvt_f32_f64_e32 v20, v[20:21]
	s_delay_alu instid0(VALU_DEP_2) | instskip(SKIP_1) | instid1(VALU_DEP_1)
	v_cvt_f32_f64_e32 v21, v[0:1]
	v_mad_u64_u32 v[0:1], null, s4, v66, 0
	v_mad_u64_u32 v[22:23], null, s5, v66, v[1:2]
	s_delay_alu instid0(VALU_DEP_1) | instskip(SKIP_2) | instid1(VALU_DEP_3)
	v_mov_b32_e32 v1, v22
	v_cvt_f64_f32_e32 v[22:23], v24
	v_cvt_f64_f32_e32 v[24:25], v25
	v_lshlrev_b64 v[0:1], 3, v[0:1]
	s_delay_alu instid0(VALU_DEP_3) | instskip(NEXT) | instid1(VALU_DEP_3)
	v_mul_f64 v[22:23], v[22:23], s[2:3]
	v_mul_f64 v[24:25], v[24:25], s[2:3]
	s_delay_alu instid0(VALU_DEP_2) | instskip(NEXT) | instid1(VALU_DEP_2)
	v_cvt_f32_f64_e32 v22, v[22:23]
	v_cvt_f32_f64_e32 v23, v[24:25]
	v_cvt_f64_f32_e32 v[24:25], v12
	v_cvt_f64_f32_e32 v[12:13], v13
	s_delay_alu instid0(VALU_DEP_2) | instskip(NEXT) | instid1(VALU_DEP_2)
	v_mul_f64 v[24:25], v[24:25], s[2:3]
	v_mul_f64 v[12:13], v[12:13], s[2:3]
	s_delay_alu instid0(VALU_DEP_2) | instskip(NEXT) | instid1(VALU_DEP_2)
	v_cvt_f32_f64_e32 v24, v[24:25]
	v_cvt_f32_f64_e32 v25, v[12:13]
	v_lshlrev_b64 v[12:13], 3, v[18:19]
	v_cvt_f64_f32_e32 v[18:19], v35
	s_delay_alu instid0(VALU_DEP_2) | instskip(NEXT) | instid1(VALU_DEP_3)
	v_add_co_u32 v66, vcc_lo, s0, v12
	v_add_co_ci_u32_e32 v67, vcc_lo, s1, v13, vcc_lo
	v_cvt_f64_f32_e32 v[12:13], v34
	s_delay_alu instid0(VALU_DEP_3) | instskip(NEXT) | instid1(VALU_DEP_3)
	v_add_co_u32 v0, vcc_lo, v66, v0
	v_add_co_ci_u32_e32 v1, vcc_lo, v67, v1, vcc_lo
	s_mul_i32 s0, s5, 0xb40
	s_mul_hi_u32 s1, s4, 0xb40
	v_cvt_f64_f32_e32 v[34:35], v64
	global_store_b64 v[0:1], v[20:21], off
	v_cvt_f64_f32_e32 v[20:21], v11
	s_add_i32 s0, s1, s0
	s_mul_i32 s1, s4, 0xb40
	s_delay_alu instid0(SALU_CYCLE_1)
	v_add_co_u32 v0, vcc_lo, v0, s1
	v_add_co_ci_u32_e32 v1, vcc_lo, s0, v1, vcc_lo
	global_store_b64 v[0:1], v[22:23], off
	v_add_co_u32 v0, vcc_lo, v0, s1
	v_add_co_ci_u32_e32 v1, vcc_lo, s0, v1, vcc_lo
	v_cvt_f64_f32_e32 v[22:23], v51
	global_store_b64 v[0:1], v[24:25], off
	v_mul_f64 v[18:19], v[18:19], s[2:3]
	v_add_co_u32 v0, vcc_lo, v0, s1
	v_add_co_ci_u32_e32 v1, vcc_lo, s0, v1, vcc_lo
	v_cvt_f64_f32_e32 v[24:25], v27
	v_mul_f64 v[12:13], v[12:13], s[2:3]
	v_mul_f64 v[34:35], v[34:35], s[2:3]
	;; [unrolled: 1-line block ×5, first 2 shown]
	v_cvt_f32_f64_e32 v12, v[12:13]
	v_cvt_f32_f64_e32 v13, v[18:19]
	v_cvt_f64_f32_e32 v[18:19], v9
	global_store_b64 v[0:1], v[12:13], off
	v_mul_f64 v[18:19], v[18:19], s[2:3]
	v_cvt_f64_f32_e32 v[11:12], v42
	v_add_co_u32 v0, vcc_lo, v0, s1
	v_add_co_ci_u32_e32 v1, vcc_lo, s0, v1, vcc_lo
	s_delay_alu instid0(VALU_DEP_4)
	v_cvt_f32_f64_e32 v18, v[18:19]
	v_cvt_f32_f64_e32 v19, v[20:21]
	v_cvt_f64_f32_e32 v[20:21], v43
	v_mul_f64 v[11:12], v[11:12], s[2:3]
	global_store_b64 v[0:1], v[18:19], off
	v_mul_f64 v[20:21], v[20:21], s[2:3]
	v_cvt_f32_f64_e32 v11, v[11:12]
	v_add_co_u32 v0, vcc_lo, v0, s1
	v_add_co_ci_u32_e32 v1, vcc_lo, s0, v1, vcc_lo
	v_cvt_f64_f32_e32 v[18:19], v4
	v_cvt_f64_f32_e32 v[4:5], v5
	v_cvt_f32_f64_e32 v12, v[20:21]
	v_cvt_f64_f32_e32 v[20:21], v15
	v_cvt_f64_f32_e32 v[15:16], v16
	v_mul_f64 v[18:19], v[18:19], s[2:3]
	v_mul_f64 v[4:5], v[4:5], s[2:3]
	global_store_b64 v[0:1], v[11:12], off
	v_mul_f64 v[20:21], v[20:21], s[2:3]
	v_mul_f64 v[15:16], v[15:16], s[2:3]
	v_add_co_u32 v0, vcc_lo, v0, s1
	v_add_co_ci_u32_e32 v1, vcc_lo, s0, v1, vcc_lo
	v_cvt_f64_f32_e32 v[11:12], v58
	v_cvt_f32_f64_e32 v20, v[20:21]
	v_cvt_f32_f64_e32 v21, v[15:16]
	v_cvt_f64_f32_e32 v[15:16], v50
	s_delay_alu instid0(VALU_DEP_4)
	v_mul_f64 v[11:12], v[11:12], s[2:3]
	global_store_b64 v[0:1], v[20:21], off
	v_mul_f64 v[15:16], v[15:16], s[2:3]
	v_add_co_u32 v0, vcc_lo, v0, s1
	v_add_co_ci_u32_e32 v1, vcc_lo, s0, v1, vcc_lo
	v_cvt_f32_f64_e32 v11, v[11:12]
	v_cvt_f64_f32_e32 v[20:21], v31
	v_cvt_f32_f64_e32 v15, v[15:16]
	v_cvt_f32_f64_e32 v16, v[22:23]
	v_cvt_f64_f32_e32 v[22:23], v26
	v_cvt_f64_f32_e32 v[26:27], v48
	v_mul_f64 v[20:21], v[20:21], s[2:3]
	global_store_b64 v[0:1], v[15:16], off
	v_cvt_f64_f32_e32 v[15:16], v59
	v_mul_f64 v[22:23], v[22:23], s[2:3]
	v_add_co_u32 v0, vcc_lo, v0, s1
	v_add_co_ci_u32_e32 v1, vcc_lo, s0, v1, vcc_lo
	v_mul_f64 v[26:27], v[26:27], s[2:3]
	v_mul_f64 v[15:16], v[15:16], s[2:3]
	v_cvt_f32_f64_e32 v22, v[22:23]
	v_cvt_f32_f64_e32 v23, v[24:25]
	v_cvt_f64_f32_e32 v[24:25], v44
	v_cvt_f32_f64_e32 v26, v[26:27]
	v_cvt_f32_f64_e32 v12, v[15:16]
	v_cvt_f64_f32_e32 v[15:16], v2
	v_cvt_f64_f32_e32 v[2:3], v3
	global_store_b64 v[0:1], v[22:23], off
	v_add_co_u32 v0, vcc_lo, v0, s1
	v_add_co_ci_u32_e32 v1, vcc_lo, s0, v1, vcc_lo
	v_cvt_f64_f32_e32 v[22:23], v40
	v_mul_f64 v[24:25], v[24:25], s[2:3]
	global_store_b64 v[0:1], v[11:12], off
	v_mul_f64 v[15:16], v[15:16], s[2:3]
	v_mul_f64 v[2:3], v[2:3], s[2:3]
	v_cvt_f64_f32_e32 v[12:13], v14
	v_mul_f64 v[22:23], v[22:23], s[2:3]
	v_cvt_f32_f64_e32 v24, v[24:25]
	v_cvt_f32_f64_e32 v15, v[15:16]
	;; [unrolled: 1-line block ×3, first 2 shown]
	v_cvt_f64_f32_e32 v[18:19], v30
	v_cvt_f32_f64_e32 v2, v[2:3]
	v_cvt_f32_f64_e32 v3, v[4:5]
	v_cvt_f64_f32_e32 v[4:5], v38
	v_mul_f64 v[12:13], v[12:13], s[2:3]
	v_cvt_f64_f32_e32 v[30:31], v56
	v_cvt_f32_f64_e32 v22, v[22:23]
	v_mul_f64 v[18:19], v[18:19], s[2:3]
	v_mul_f64 v[4:5], v[4:5], s[2:3]
	v_cvt_f32_f64_e32 v12, v[12:13]
	v_mul_f64 v[30:31], v[30:31], s[2:3]
	s_delay_alu instid0(VALU_DEP_4) | instskip(SKIP_4) | instid1(VALU_DEP_3)
	v_cvt_f32_f64_e32 v18, v[18:19]
	v_cvt_f32_f64_e32 v19, v[20:21]
	v_cvt_f64_f32_e32 v[20:21], v39
	v_cvt_f32_f64_e32 v4, v[4:5]
	v_cvt_f32_f64_e32 v30, v[30:31]
	v_mul_f64 v[20:21], v[20:21], s[2:3]
	s_delay_alu instid0(VALU_DEP_1) | instskip(SKIP_2) | instid1(VALU_DEP_2)
	v_cvt_f32_f64_e32 v5, v[20:21]
	v_cvt_f64_f32_e32 v[20:21], v6
	v_cvt_f64_f32_e32 v[6:7], v7
	v_mul_f64 v[20:21], v[20:21], s[2:3]
	s_delay_alu instid0(VALU_DEP_2) | instskip(NEXT) | instid1(VALU_DEP_2)
	v_mul_f64 v[6:7], v[6:7], s[2:3]
	v_cvt_f32_f64_e32 v20, v[20:21]
	s_delay_alu instid0(VALU_DEP_2) | instskip(SKIP_1) | instid1(VALU_DEP_1)
	v_cvt_f32_f64_e32 v21, v[6:7]
	v_mad_u64_u32 v[6:7], null, 0xffff9e80, s4, v[0:1]
	v_add_nc_u32_e32 v7, s6, v7
	s_delay_alu instid0(VALU_DEP_2)
	v_add_co_u32 v0, vcc_lo, v6, s1
	global_store_b64 v[6:7], v[15:16], off
	scratch_load_b32 v6, off, off offset:8  ; 4-byte Folded Reload
	v_add_co_ci_u32_e32 v1, vcc_lo, s0, v7, vcc_lo
	v_cvt_f64_f32_e32 v[14:15], v62
	global_store_b64 v[0:1], v[18:19], off
	v_add_co_u32 v0, vcc_lo, v0, s1
	v_add_co_ci_u32_e32 v1, vcc_lo, s0, v1, vcc_lo
	v_cvt_f64_f32_e32 v[18:19], v32
	global_store_b64 v[0:1], v[2:3], off
	v_add_co_u32 v0, vcc_lo, v0, s1
	v_add_co_ci_u32_e32 v1, vcc_lo, s0, v1, vcc_lo
	global_store_b64 v[0:1], v[4:5], off
	v_add_co_u32 v0, vcc_lo, v0, s1
	v_add_co_ci_u32_e32 v1, vcc_lo, s0, v1, vcc_lo
	global_store_b64 v[0:1], v[20:21], off
	v_cvt_f64_f32_e32 v[20:21], v36
	v_mul_f64 v[14:15], v[14:15], s[2:3]
	v_mul_f64 v[18:19], v[18:19], s[2:3]
	s_delay_alu instid0(VALU_DEP_3) | instskip(NEXT) | instid1(VALU_DEP_3)
	v_mul_f64 v[20:21], v[20:21], s[2:3]
	v_cvt_f32_f64_e32 v14, v[14:15]
	s_delay_alu instid0(VALU_DEP_3) | instskip(NEXT) | instid1(VALU_DEP_3)
	v_cvt_f32_f64_e32 v18, v[18:19]
	v_cvt_f32_f64_e32 v20, v[20:21]
	s_waitcnt vmcnt(0)
	v_mad_u64_u32 v[2:3], null, s4, v6, 0
	s_delay_alu instid0(VALU_DEP_1) | instskip(SKIP_1) | instid1(VALU_DEP_2)
	v_mad_u64_u32 v[4:5], null, s5, v6, v[3:4]
	v_cvt_f64_f32_e32 v[6:7], v47
	v_mov_b32_e32 v3, v4
	v_cvt_f64_f32_e32 v[4:5], v46
	s_delay_alu instid0(VALU_DEP_2) | instskip(NEXT) | instid1(VALU_DEP_4)
	v_lshlrev_b64 v[2:3], 3, v[2:3]
	v_mul_f64 v[6:7], v[6:7], s[2:3]
	s_delay_alu instid0(VALU_DEP_3) | instskip(NEXT) | instid1(VALU_DEP_1)
	v_mul_f64 v[4:5], v[4:5], s[2:3]
	v_cvt_f32_f64_e32 v4, v[4:5]
	s_delay_alu instid0(VALU_DEP_3) | instskip(SKIP_2) | instid1(VALU_DEP_2)
	v_cvt_f32_f64_e32 v5, v[6:7]
	v_cvt_f64_f32_e32 v[6:7], v8
	v_cvt_f64_f32_e32 v[8:9], v10
	v_mul_f64 v[6:7], v[6:7], s[2:3]
	s_delay_alu instid0(VALU_DEP_2) | instskip(NEXT) | instid1(VALU_DEP_2)
	v_mul_f64 v[8:9], v[8:9], s[2:3]
	v_cvt_f32_f64_e32 v6, v[6:7]
	s_delay_alu instid0(VALU_DEP_2) | instskip(SKIP_3) | instid1(VALU_DEP_3)
	v_cvt_f32_f64_e32 v7, v[8:9]
	v_mad_u64_u32 v[8:9], null, 0x1680, s4, v[0:1]
	v_add_co_u32 v0, vcc_lo, v66, v2
	v_add_co_ci_u32_e32 v1, vcc_lo, v67, v3, vcc_lo
	v_mov_b32_e32 v2, v9
	global_store_b64 v[0:1], v[4:5], off
	v_cvt_f64_f32_e32 v[0:1], v63
	v_cvt_f64_f32_e32 v[4:5], v28
	v_mad_u64_u32 v[9:10], null, 0x1680, s5, v[2:3]
	v_cvt_f64_f32_e32 v[2:3], v54
	v_cvt_f64_f32_e32 v[10:11], v55
	global_store_b64 v[8:9], v[6:7], off
	v_add_co_u32 v6, vcc_lo, v8, s1
	v_add_co_ci_u32_e32 v7, vcc_lo, s0, v9, vcc_lo
	v_cvt_f64_f32_e32 v[8:9], v33
	v_cvt_f64_f32_e32 v[32:33], v60
	v_mul_f64 v[0:1], v[0:1], s[2:3]
	v_mul_f64 v[4:5], v[4:5], s[2:3]
	v_mul_f64 v[2:3], v[2:3], s[2:3]
	v_mul_f64 v[10:11], v[10:11], s[2:3]
	v_mul_f64 v[8:9], v[8:9], s[2:3]
	v_mul_f64 v[32:33], v[32:33], s[2:3]
	v_cvt_f32_f64_e32 v15, v[0:1]
	v_cvt_f64_f32_e32 v[0:1], v49
	v_cvt_f32_f64_e32 v4, v[4:5]
	v_cvt_f32_f64_e32 v2, v[2:3]
	;; [unrolled: 1-line block ×3, first 2 shown]
	v_cvt_f64_f32_e32 v[10:11], v17
	v_cvt_f64_f32_e32 v[16:17], v29
	;; [unrolled: 1-line block ×3, first 2 shown]
	v_cvt_f32_f64_e32 v19, v[8:9]
	v_cvt_f64_f32_e32 v[8:9], v57
	v_mul_f64 v[0:1], v[0:1], s[2:3]
	global_store_b64 v[6:7], v[2:3], off
	v_mul_f64 v[10:11], v[10:11], s[2:3]
	v_add_co_u32 v2, vcc_lo, v6, s1
	v_add_co_ci_u32_e32 v3, vcc_lo, s0, v7, vcc_lo
	v_cvt_f64_f32_e32 v[6:7], v41
	v_mul_f64 v[16:17], v[16:17], s[2:3]
	v_mul_f64 v[28:29], v[28:29], s[2:3]
	;; [unrolled: 1-line block ×3, first 2 shown]
	v_cvt_f32_f64_e32 v27, v[0:1]
	v_cvt_f32_f64_e32 v13, v[10:11]
	v_cvt_f64_f32_e32 v[10:11], v37
	v_mul_f64 v[6:7], v[6:7], s[2:3]
	v_cvt_f32_f64_e32 v5, v[16:17]
	v_cvt_f64_f32_e32 v[16:17], v53
	v_cvt_f32_f64_e32 v28, v[28:29]
	v_cvt_f32_f64_e32 v31, v[8:9]
	;; [unrolled: 1-line block ×3, first 2 shown]
	global_store_b64 v[2:3], v[12:13], off
	v_mul_f64 v[10:11], v[10:11], s[2:3]
	v_cvt_f64_f32_e32 v[12:13], v45
	v_add_co_u32 v2, vcc_lo, v2, s1
	v_cvt_f32_f64_e32 v23, v[6:7]
	v_cvt_f64_f32_e32 v[6:7], v65
	v_mul_f64 v[16:17], v[16:17], s[2:3]
	v_add_co_ci_u32_e32 v3, vcc_lo, s0, v3, vcc_lo
	global_store_b64 v[2:3], v[14:15], off
	v_cvt_f32_f64_e32 v21, v[10:11]
	v_cvt_f64_f32_e32 v[10:11], v61
	v_mul_f64 v[12:13], v[12:13], s[2:3]
	v_mul_f64 v[6:7], v[6:7], s[2:3]
	v_cvt_f32_f64_e32 v29, v[16:17]
	s_delay_alu instid0(VALU_DEP_4) | instskip(NEXT) | instid1(VALU_DEP_4)
	v_mul_f64 v[10:11], v[10:11], s[2:3]
	v_cvt_f32_f64_e32 v25, v[12:13]
	v_mad_u64_u32 v[12:13], null, 0xffff9e80, s4, v[2:3]
	s_delay_alu instid0(VALU_DEP_1) | instskip(NEXT) | instid1(VALU_DEP_2)
	v_add_nc_u32_e32 v13, s6, v13
	v_add_co_u32 v0, vcc_lo, v12, s1
	s_delay_alu instid0(VALU_DEP_2) | instskip(NEXT) | instid1(VALU_DEP_2)
	v_add_co_ci_u32_e32 v1, vcc_lo, s0, v13, vcc_lo
	v_add_co_u32 v16, vcc_lo, v0, s1
	global_store_b64 v[12:13], v[4:5], off
	v_add_co_ci_u32_e32 v17, vcc_lo, s0, v1, vcc_lo
	global_store_b64 v[0:1], v[18:19], off
	global_store_b64 v[16:17], v[20:21], off
	v_cvt_f32_f64_e32 v9, v[10:11]
	v_cvt_f32_f64_e32 v10, v[34:35]
	;; [unrolled: 1-line block ×3, first 2 shown]
	v_add_co_u32 v6, vcc_lo, v16, s1
	v_add_co_ci_u32_e32 v7, vcc_lo, s0, v17, vcc_lo
	s_delay_alu instid0(VALU_DEP_2) | instskip(NEXT) | instid1(VALU_DEP_2)
	v_add_co_u32 v2, vcc_lo, v6, s1
	v_add_co_ci_u32_e32 v3, vcc_lo, s0, v7, vcc_lo
	global_store_b64 v[6:7], v[22:23], off
	v_add_co_u32 v4, vcc_lo, v2, s1
	v_add_co_ci_u32_e32 v5, vcc_lo, s0, v3, vcc_lo
	global_store_b64 v[2:3], v[24:25], off
	v_add_co_u32 v0, vcc_lo, v4, s1
	v_add_co_ci_u32_e32 v1, vcc_lo, s0, v5, vcc_lo
	s_delay_alu instid0(VALU_DEP_2) | instskip(NEXT) | instid1(VALU_DEP_2)
	v_add_co_u32 v12, vcc_lo, v0, s1
	v_add_co_ci_u32_e32 v13, vcc_lo, s0, v1, vcc_lo
	s_delay_alu instid0(VALU_DEP_2) | instskip(NEXT) | instid1(VALU_DEP_2)
	v_add_co_u32 v6, vcc_lo, v12, s1
	v_add_co_ci_u32_e32 v7, vcc_lo, s0, v13, vcc_lo
	s_delay_alu instid0(VALU_DEP_2) | instskip(NEXT) | instid1(VALU_DEP_2)
	v_add_co_u32 v2, vcc_lo, v6, s1
	v_add_co_ci_u32_e32 v3, vcc_lo, s0, v7, vcc_lo
	global_store_b64 v[4:5], v[26:27], off
	global_store_b64 v[0:1], v[28:29], off
	;; [unrolled: 1-line block ×5, first 2 shown]
.LBB0_2:
	s_nop 0
	s_sendmsg sendmsg(MSG_DEALLOC_VGPRS)
	s_endpgm
	.section	.rodata,"a",@progbits
	.p2align	6, 0x0
	.amdhsa_kernel bluestein_single_fwd_len3600_dim1_sp_op_CI_CI
		.amdhsa_group_segment_fixed_size 28800
		.amdhsa_private_segment_fixed_size 320
		.amdhsa_kernarg_size 104
		.amdhsa_user_sgpr_count 15
		.amdhsa_user_sgpr_dispatch_ptr 0
		.amdhsa_user_sgpr_queue_ptr 0
		.amdhsa_user_sgpr_kernarg_segment_ptr 1
		.amdhsa_user_sgpr_dispatch_id 0
		.amdhsa_user_sgpr_private_segment_size 0
		.amdhsa_wavefront_size32 1
		.amdhsa_uses_dynamic_stack 0
		.amdhsa_enable_private_segment 1
		.amdhsa_system_sgpr_workgroup_id_x 1
		.amdhsa_system_sgpr_workgroup_id_y 0
		.amdhsa_system_sgpr_workgroup_id_z 0
		.amdhsa_system_sgpr_workgroup_info 0
		.amdhsa_system_vgpr_workitem_id 0
		.amdhsa_next_free_vgpr 256
		.amdhsa_next_free_sgpr 20
		.amdhsa_reserve_vcc 1
		.amdhsa_float_round_mode_32 0
		.amdhsa_float_round_mode_16_64 0
		.amdhsa_float_denorm_mode_32 3
		.amdhsa_float_denorm_mode_16_64 3
		.amdhsa_dx10_clamp 1
		.amdhsa_ieee_mode 1
		.amdhsa_fp16_overflow 0
		.amdhsa_workgroup_processor_mode 1
		.amdhsa_memory_ordered 1
		.amdhsa_forward_progress 0
		.amdhsa_shared_vgpr_count 0
		.amdhsa_exception_fp_ieee_invalid_op 0
		.amdhsa_exception_fp_denorm_src 0
		.amdhsa_exception_fp_ieee_div_zero 0
		.amdhsa_exception_fp_ieee_overflow 0
		.amdhsa_exception_fp_ieee_underflow 0
		.amdhsa_exception_fp_ieee_inexact 0
		.amdhsa_exception_int_div_zero 0
	.end_amdhsa_kernel
	.text
.Lfunc_end0:
	.size	bluestein_single_fwd_len3600_dim1_sp_op_CI_CI, .Lfunc_end0-bluestein_single_fwd_len3600_dim1_sp_op_CI_CI
                                        ; -- End function
	.section	.AMDGPU.csdata,"",@progbits
; Kernel info:
; codeLenInByte = 33200
; NumSgprs: 22
; NumVgprs: 256
; ScratchSize: 320
; MemoryBound: 0
; FloatMode: 240
; IeeeMode: 1
; LDSByteSize: 28800 bytes/workgroup (compile time only)
; SGPRBlocks: 2
; VGPRBlocks: 31
; NumSGPRsForWavesPerEU: 22
; NumVGPRsForWavesPerEU: 256
; Occupancy: 4
; WaveLimiterHint : 1
; COMPUTE_PGM_RSRC2:SCRATCH_EN: 1
; COMPUTE_PGM_RSRC2:USER_SGPR: 15
; COMPUTE_PGM_RSRC2:TRAP_HANDLER: 0
; COMPUTE_PGM_RSRC2:TGID_X_EN: 1
; COMPUTE_PGM_RSRC2:TGID_Y_EN: 0
; COMPUTE_PGM_RSRC2:TGID_Z_EN: 0
; COMPUTE_PGM_RSRC2:TIDIG_COMP_CNT: 0
	.text
	.p2alignl 7, 3214868480
	.fill 96, 4, 3214868480
	.type	__hip_cuid_29dd81d000719975,@object ; @__hip_cuid_29dd81d000719975
	.section	.bss,"aw",@nobits
	.globl	__hip_cuid_29dd81d000719975
__hip_cuid_29dd81d000719975:
	.byte	0                               ; 0x0
	.size	__hip_cuid_29dd81d000719975, 1

	.ident	"AMD clang version 19.0.0git (https://github.com/RadeonOpenCompute/llvm-project roc-6.4.0 25133 c7fe45cf4b819c5991fe208aaa96edf142730f1d)"
	.section	".note.GNU-stack","",@progbits
	.addrsig
	.addrsig_sym __hip_cuid_29dd81d000719975
	.amdgpu_metadata
---
amdhsa.kernels:
  - .args:
      - .actual_access:  read_only
        .address_space:  global
        .offset:         0
        .size:           8
        .value_kind:     global_buffer
      - .actual_access:  read_only
        .address_space:  global
        .offset:         8
        .size:           8
        .value_kind:     global_buffer
      - .actual_access:  read_only
        .address_space:  global
        .offset:         16
        .size:           8
        .value_kind:     global_buffer
      - .actual_access:  read_only
        .address_space:  global
        .offset:         24
        .size:           8
        .value_kind:     global_buffer
      - .actual_access:  read_only
        .address_space:  global
        .offset:         32
        .size:           8
        .value_kind:     global_buffer
      - .offset:         40
        .size:           8
        .value_kind:     by_value
      - .address_space:  global
        .offset:         48
        .size:           8
        .value_kind:     global_buffer
      - .address_space:  global
        .offset:         56
        .size:           8
        .value_kind:     global_buffer
      - .address_space:  global
        .offset:         64
        .size:           8
        .value_kind:     global_buffer
      - .address_space:  global
        .offset:         72
        .size:           8
        .value_kind:     global_buffer
      - .offset:         80
        .size:           4
        .value_kind:     by_value
      - .address_space:  global
        .offset:         88
        .size:           8
        .value_kind:     global_buffer
      - .address_space:  global
        .offset:         96
        .size:           8
        .value_kind:     global_buffer
    .group_segment_fixed_size: 28800
    .kernarg_segment_align: 8
    .kernarg_segment_size: 104
    .language:       OpenCL C
    .language_version:
      - 2
      - 0
    .max_flat_workgroup_size: 120
    .name:           bluestein_single_fwd_len3600_dim1_sp_op_CI_CI
    .private_segment_fixed_size: 320
    .sgpr_count:     22
    .sgpr_spill_count: 0
    .symbol:         bluestein_single_fwd_len3600_dim1_sp_op_CI_CI.kd
    .uniform_work_group_size: 1
    .uses_dynamic_stack: false
    .vgpr_count:     256
    .vgpr_spill_count: 79
    .wavefront_size: 32
    .workgroup_processor_mode: 1
amdhsa.target:   amdgcn-amd-amdhsa--gfx1100
amdhsa.version:
  - 1
  - 2
...

	.end_amdgpu_metadata
